;; amdgpu-corpus repo=ROCm/rocFFT kind=compiled arch=gfx906 opt=O3
	.text
	.amdgcn_target "amdgcn-amd-amdhsa--gfx906"
	.amdhsa_code_object_version 6
	.protected	bluestein_single_back_len612_dim1_sp_op_CI_CI ; -- Begin function bluestein_single_back_len612_dim1_sp_op_CI_CI
	.globl	bluestein_single_back_len612_dim1_sp_op_CI_CI
	.p2align	8
	.type	bluestein_single_back_len612_dim1_sp_op_CI_CI,@function
bluestein_single_back_len612_dim1_sp_op_CI_CI: ; @bluestein_single_back_len612_dim1_sp_op_CI_CI
; %bb.0:
	s_load_dwordx4 s[0:3], s[4:5], 0x28
	v_mul_u32_u24_e32 v1, 0x506, v0
	v_add_u32_sdwa v227, s6, v1 dst_sel:DWORD dst_unused:UNUSED_PAD src0_sel:DWORD src1_sel:WORD_1
	v_mov_b32_e32 v228, 0
	s_waitcnt lgkmcnt(0)
	v_cmp_gt_u64_e32 vcc, s[0:1], v[227:228]
	s_and_saveexec_b64 s[0:1], vcc
	s_cbranch_execz .LBB0_15
; %bb.1:
	s_load_dwordx2 s[12:13], s[4:5], 0x0
	s_load_dwordx2 s[14:15], s[4:5], 0x38
	v_mov_b32_e32 v2, 51
	v_mul_lo_u16_sdwa v1, v1, v2 dst_sel:DWORD dst_unused:UNUSED_PAD src0_sel:WORD_1 src1_sel:DWORD
	v_sub_u16_e32 v85, v0, v1
	v_cmp_gt_u16_e32 vcc, 36, v85
	v_lshlrev_b32_e32 v86, 3, v85
	s_and_saveexec_b64 s[6:7], vcc
	s_cbranch_execz .LBB0_3
; %bb.2:
	s_load_dwordx2 s[0:1], s[4:5], 0x18
	s_waitcnt lgkmcnt(0)
	v_mov_b32_e32 v22, s13
	v_or_b32_e32 v57, 0x240, v85
	v_lshlrev_b32_e32 v26, 3, v57
	s_load_dwordx4 s[8:11], s[0:1], 0x0
	s_waitcnt lgkmcnt(0)
	v_mad_u64_u32 v[0:1], s[0:1], s10, v227, 0
	v_mad_u64_u32 v[2:3], s[0:1], s8, v85, 0
	;; [unrolled: 1-line block ×4, first 2 shown]
	v_mov_b32_e32 v1, v4
	v_lshlrev_b64 v[0:1], 3, v[0:1]
	v_mov_b32_e32 v3, v5
	v_mov_b32_e32 v6, s3
	v_lshlrev_b64 v[2:3], 3, v[2:3]
	v_add_co_u32_e64 v74, s[0:1], s2, v0
	v_addc_co_u32_e64 v75, s[0:1], v6, v1, s[0:1]
	v_add_co_u32_e64 v0, s[0:1], v74, v2
	v_addc_co_u32_e64 v1, s[0:1], v75, v3, s[0:1]
	s_mul_i32 s0, s9, 0x120
	s_mul_hi_u32 s3, s8, 0x120
	s_add_i32 s3, s3, s0
	s_mul_i32 s2, s8, 0x120
	v_mov_b32_e32 v3, s3
	v_add_co_u32_e64 v2, s[0:1], s2, v0
	v_addc_co_u32_e64 v3, s[0:1], v1, v3, s[0:1]
	v_mov_b32_e32 v5, s3
	v_add_co_u32_e64 v4, s[0:1], s2, v2
	v_addc_co_u32_e64 v5, s[0:1], v3, v5, s[0:1]
	;; [unrolled: 3-line block ×3, first 2 shown]
	v_add_co_u32_e64 v68, s[0:1], s12, v86
	v_addc_co_u32_e64 v69, s[0:1], 0, v22, s[0:1]
	global_load_dwordx2 v[6:7], v86, s[12:13] offset:288
	global_load_dwordx2 v[8:9], v86, s[12:13] offset:576
	global_load_dwordx2 v[12:13], v[0:1], off
	global_load_dwordx2 v[14:15], v[2:3], off
	;; [unrolled: 1-line block ×4, first 2 shown]
	s_nop 0
	global_load_dwordx2 v[0:1], v86, s[12:13] offset:864
	global_load_dwordx2 v[2:3], v86, s[12:13] offset:1152
	;; [unrolled: 1-line block ×4, first 2 shown]
	global_load_dwordx2 v[22:23], v86, s[12:13]
	global_load_dwordx2 v[24:25], v26, s[12:13]
	v_mov_b32_e32 v26, s3
	v_add_co_u32_e64 v10, s[0:1], s2, v10
	v_addc_co_u32_e64 v11, s[0:1], v11, v26, s[0:1]
	v_mov_b32_e32 v28, s3
	global_load_dwordx2 v[26:27], v[10:11], off
	v_add_co_u32_e64 v10, s[0:1], s2, v10
	v_addc_co_u32_e64 v11, s[0:1], v11, v28, s[0:1]
	v_mov_b32_e32 v30, s3
	global_load_dwordx2 v[28:29], v[10:11], off
	;; [unrolled: 4-line block ×4, first 2 shown]
	v_add_co_u32_e64 v10, s[0:1], s2, v10
	v_addc_co_u32_e64 v11, s[0:1], v11, v34, s[0:1]
	global_load_dwordx2 v[34:35], v[10:11], off
	v_mov_b32_e32 v36, s3
	v_add_co_u32_e64 v10, s[0:1], s2, v10
	v_addc_co_u32_e64 v11, s[0:1], v11, v36, s[0:1]
	global_load_dwordx2 v[36:37], v[10:11], off
	v_mov_b32_e32 v38, s3
	v_add_co_u32_e64 v10, s[0:1], s2, v10
	v_addc_co_u32_e64 v11, s[0:1], v11, v38, s[0:1]
	global_load_dwordx2 v[38:39], v[10:11], off
	global_load_dwordx2 v[40:41], v86, s[12:13] offset:2016
	global_load_dwordx2 v[42:43], v86, s[12:13] offset:2304
	;; [unrolled: 1-line block ×4, first 2 shown]
	v_mov_b32_e32 v48, s3
	v_add_co_u32_e64 v10, s[0:1], s2, v10
	v_addc_co_u32_e64 v11, s[0:1], v11, v48, s[0:1]
	global_load_dwordx2 v[48:49], v[10:11], off
	v_mov_b32_e32 v50, s3
	v_add_co_u32_e64 v10, s[0:1], s2, v10
	v_addc_co_u32_e64 v11, s[0:1], v11, v50, s[0:1]
	v_mad_u64_u32 v[52:53], s[0:1], s8, v57, 0
	global_load_dwordx2 v[50:51], v[10:11], off
	v_mov_b32_e32 v54, s3
	v_add_co_u32_e64 v10, s[0:1], s2, v10
	v_addc_co_u32_e64 v11, s[0:1], v11, v54, s[0:1]
	global_load_dwordx2 v[54:55], v[10:11], off
	v_mov_b32_e32 v60, s3
	s_waitcnt vmcnt(0)
	v_mad_u64_u32 v[57:58], s[0:1], s9, v57, v[53:54]
	v_add_co_u32_e64 v10, s[0:1], s2, v10
	v_addc_co_u32_e64 v11, s[0:1], v11, v60, s[0:1]
	v_mov_b32_e32 v53, v57
	v_mov_b32_e32 v57, s3
	v_add_co_u32_e64 v62, s[0:1], s2, v10
	global_load_dwordx2 v[58:59], v86, s[12:13] offset:3168
	global_load_dwordx2 v[60:61], v86, s[12:13] offset:3456
	v_addc_co_u32_e64 v63, s[0:1], v11, v57, s[0:1]
	s_movk_i32 s0, 0x1000
	v_add_co_u32_e64 v68, s[0:1], s0, v68
	v_lshlrev_b64 v[52:53], 3, v[52:53]
	global_load_dwordx2 v[64:65], v86, s[12:13] offset:3744
	global_load_dwordx2 v[66:67], v[10:11], off
	v_addc_co_u32_e64 v69, s[0:1], 0, v69, s[0:1]
	global_load_dwordx2 v[10:11], v86, s[12:13] offset:4032
	global_load_dwordx2 v[70:71], v[62:63], off
	global_load_dwordx2 v[72:73], v[68:69], off offset:224
	v_add_co_u32_e64 v52, s[0:1], v74, v52
	v_addc_co_u32_e64 v53, s[0:1], v75, v53, s[0:1]
	global_load_dwordx2 v[52:53], v[52:53], off
	v_mul_f32_e32 v62, v13, v23
	v_mul_f32_e32 v23, v12, v23
	v_fmac_f32_e32 v62, v12, v22
	v_mul_f32_e32 v12, v15, v7
	v_mul_f32_e32 v7, v14, v7
	v_fma_f32 v63, v13, v22, -v23
	v_fmac_f32_e32 v12, v14, v6
	v_fma_f32 v13, v15, v6, -v7
	v_mul_f32_e32 v6, v17, v9
	v_mul_f32_e32 v7, v16, v9
	v_fmac_f32_e32 v6, v16, v8
	v_fma_f32 v7, v17, v8, -v7
	v_mul_f32_e32 v8, v19, v1
	v_mul_f32_e32 v1, v18, v1
	;; [unrolled: 4-line block ×4, first 2 shown]
	v_fmac_f32_e32 v2, v28, v4
	v_fma_f32 v3, v29, v4, -v3
	ds_write2_b64 v86, v[62:63], v[12:13] offset1:36
	ds_write2_b64 v86, v[0:1], v[2:3] offset0:144 offset1:180
	v_mul_f32_e32 v0, v31, v21
	v_mul_f32_e32 v1, v30, v21
	;; [unrolled: 1-line block ×4, first 2 shown]
	v_fmac_f32_e32 v0, v30, v20
	v_fma_f32 v1, v31, v20, -v1
	v_fmac_f32_e32 v2, v32, v40
	v_fma_f32 v3, v33, v40, -v3
	ds_write2_b64 v86, v[0:1], v[2:3] offset0:216 offset1:252
	v_mul_f32_e32 v0, v35, v43
	v_mul_f32_e32 v1, v34, v43
	;; [unrolled: 1-line block ×4, first 2 shown]
	v_fmac_f32_e32 v0, v34, v42
	v_fma_f32 v1, v35, v42, -v1
	v_fmac_f32_e32 v2, v36, v44
	v_fma_f32 v3, v37, v44, -v3
	v_add_u32_e32 v4, 0x800, v86
	ds_write2_b64 v4, v[0:1], v[2:3] offset0:32 offset1:68
	v_mul_f32_e32 v0, v39, v47
	v_mul_f32_e32 v1, v38, v47
	v_fmac_f32_e32 v0, v38, v46
	v_fma_f32 v1, v39, v46, -v1
	ds_write2_b64 v86, v[6:7], v[8:9] offset0:72 offset1:108
	s_waitcnt vmcnt(7)
	v_mul_f32_e32 v2, v49, v59
	v_mul_f32_e32 v3, v48, v59
	v_fmac_f32_e32 v2, v48, v58
	v_fma_f32 v3, v49, v58, -v3
	ds_write2_b64 v4, v[0:1], v[2:3] offset0:104 offset1:140
	s_waitcnt vmcnt(6)
	v_mul_f32_e32 v0, v51, v61
	v_mul_f32_e32 v1, v50, v61
	s_waitcnt vmcnt(5)
	v_mul_f32_e32 v2, v55, v65
	v_mul_f32_e32 v3, v54, v65
	v_fmac_f32_e32 v0, v50, v60
	v_fma_f32 v1, v51, v60, -v1
	v_fmac_f32_e32 v2, v54, v64
	v_fma_f32 v3, v55, v64, -v3
	ds_write2_b64 v4, v[0:1], v[2:3] offset0:176 offset1:212
	s_waitcnt vmcnt(3)
	v_mul_f32_e32 v0, v67, v11
	v_mul_f32_e32 v1, v66, v11
	s_waitcnt vmcnt(1)
	v_mul_f32_e32 v2, v71, v73
	v_mul_f32_e32 v3, v70, v73
	v_fmac_f32_e32 v0, v66, v10
	v_fma_f32 v1, v67, v10, -v1
	v_fmac_f32_e32 v2, v70, v72
	v_fma_f32 v3, v71, v72, -v3
	v_add_u32_e32 v4, 0xc00, v86
	ds_write2_b64 v4, v[0:1], v[2:3] offset0:120 offset1:156
	s_waitcnt vmcnt(0)
	v_mul_f32_e32 v0, v53, v25
	v_mul_f32_e32 v1, v52, v25
	v_fmac_f32_e32 v0, v52, v24
	v_fma_f32 v1, v53, v24, -v1
	ds_write_b64 v86, v[0:1] offset:4608
.LBB0_3:
	s_or_b64 exec, exec, s[6:7]
	s_load_dwordx2 s[2:3], s[4:5], 0x20
	s_load_dwordx2 s[0:1], s[4:5], 0x8
	v_mov_b32_e32 v8, 0
	v_mov_b32_e32 v9, 0
	s_waitcnt lgkmcnt(0)
	; wave barrier
	s_waitcnt lgkmcnt(0)
                                        ; implicit-def: $vgpr14
                                        ; implicit-def: $vgpr18
                                        ; implicit-def: $vgpr32
                                        ; implicit-def: $vgpr36
                                        ; implicit-def: $vgpr40
                                        ; implicit-def: $vgpr30
                                        ; implicit-def: $vgpr26
                                        ; implicit-def: $vgpr22
	s_and_saveexec_b64 s[4:5], vcc
	s_cbranch_execz .LBB0_5
; %bb.4:
	ds_read2_b64 v[8:11], v86 offset1:36
	ds_read2_b64 v[20:23], v86 offset0:72 offset1:108
	ds_read2_b64 v[24:27], v86 offset0:144 offset1:180
	;; [unrolled: 1-line block ×3, first 2 shown]
	v_add_u32_e32 v0, 0x800, v86
	ds_read2_b64 v[12:15], v0 offset0:32 offset1:68
	ds_read2_b64 v[16:19], v0 offset0:104 offset1:140
	;; [unrolled: 1-line block ×3, first 2 shown]
	v_add_u32_e32 v0, 0xc00, v86
	ds_read2_b64 v[36:39], v0 offset0:120 offset1:156
	ds_read_b64 v[40:41], v86 offset:4608
.LBB0_5:
	s_or_b64 exec, exec, s[4:5]
	s_waitcnt lgkmcnt(0)
	v_sub_f32_e32 v71, v11, v41
	v_mul_f32_e32 v197, 0xbeb8f4ab, v71
	v_sub_f32_e32 v76, v21, v39
	v_add_f32_e32 v44, v40, v10
	v_sub_f32_e32 v75, v10, v40
	v_mov_b32_e32 v0, v197
	v_mul_f32_e32 v54, 0xbf2c7751, v76
	v_add_f32_e32 v45, v41, v11
	s_mov_b32 s6, 0x3f6eb680
	v_mul_f32_e32 v52, 0xbeb8f4ab, v75
	v_fmac_f32_e32 v0, 0x3f6eb680, v44
	v_add_f32_e32 v46, v38, v20
	v_sub_f32_e32 v79, v20, v38
	v_mov_b32_e32 v2, v54
	v_add_f32_e32 v0, v0, v8
	v_fma_f32 v1, v45, s6, -v52
	s_mov_b32 s7, 0x3f3d2fb0
	v_add_f32_e32 v47, v39, v21
	v_mul_f32_e32 v59, 0xbf2c7751, v79
	v_fmac_f32_e32 v2, 0x3f3d2fb0, v46
	v_sub_f32_e32 v80, v23, v37
	v_add_f32_e32 v1, v1, v9
	v_add_f32_e32 v0, v2, v0
	v_fma_f32 v2, v47, s7, -v59
	v_mul_f32_e32 v61, 0xbf65296c, v80
	v_add_f32_e32 v1, v2, v1
	v_add_f32_e32 v48, v36, v22
	v_sub_f32_e32 v83, v22, v36
	v_mov_b32_e32 v2, v61
	s_mov_b32 s8, 0x3ee437d1
	v_add_f32_e32 v49, v37, v23
	v_mul_f32_e32 v63, 0xbf65296c, v83
	v_fmac_f32_e32 v2, 0x3ee437d1, v48
	v_sub_f32_e32 v84, v25, v35
	v_add_f32_e32 v0, v2, v0
	v_fma_f32 v2, v49, s8, -v63
	v_mul_f32_e32 v65, 0xbf7ee86f, v84
	v_add_f32_e32 v1, v2, v1
	v_add_f32_e32 v51, v34, v24
	v_sub_f32_e32 v88, v24, v34
	v_mov_b32_e32 v2, v65
	s_mov_b32 s9, 0x3dbcf732
	v_add_f32_e32 v53, v35, v25
	v_fmac_f32_e32 v2, 0x3dbcf732, v51
	v_mul_f32_e32 v188, 0xbf7ee86f, v88
	v_sub_f32_e32 v89, v27, v33
	v_add_f32_e32 v0, v2, v0
	v_fma_f32 v2, v53, s9, -v188
	v_mul_f32_e32 v68, 0xbf763a35, v89
	v_add_f32_e32 v1, v2, v1
	v_add_f32_e32 v55, v32, v26
	v_mov_b32_e32 v2, v68
	v_sub_f32_e32 v100, v26, v32
	v_fmac_f32_e32 v2, 0xbe8c1d8e, v55
	s_mov_b32 s10, 0xbe8c1d8e
	v_add_f32_e32 v60, v33, v27
	v_mul_f32_e32 v72, 0xbf763a35, v100
	v_sub_f32_e32 v102, v29, v19
	v_add_f32_e32 v0, v2, v0
	v_fma_f32 v2, v60, s10, -v72
	v_mul_f32_e32 v73, 0xbf4c4adb, v102
	v_add_f32_e32 v1, v2, v1
	v_add_f32_e32 v62, v18, v28
	v_mov_b32_e32 v2, v73
	v_sub_f32_e32 v108, v28, v18
	v_fmac_f32_e32 v2, 0xbf1a4643, v62
	s_mov_b32 s11, 0xbf1a4643
	v_add_f32_e32 v64, v19, v29
	;; [unrolled: 12-line block ×3, first 2 shown]
	v_mul_f32_e32 v81, 0xbf06c442, v118
	v_sub_f32_e32 v119, v13, v15
	v_add_f32_e32 v0, v2, v0
	v_fma_f32 v2, v69, s17, -v81
	v_mul_f32_e32 v82, 0xbe3c28d5, v119
	v_add_f32_e32 v1, v2, v1
	v_add_f32_e32 v70, v14, v12
	v_mov_b32_e32 v2, v82
	v_sub_f32_e32 v128, v12, v14
	s_mov_b32 s16, 0xbf7ba420
	v_fmac_f32_e32 v2, 0xbf7ba420, v70
	v_add_f32_e32 v74, v15, v13
	v_mul_f32_e32 v87, 0xbe3c28d5, v128
	v_add_f32_e32 v57, v2, v0
	v_fma_f32 v0, v74, s16, -v87
	v_mul_f32_e32 v90, 0xbf2c7751, v71
	v_add_f32_e32 v58, v0, v1
	v_mov_b32_e32 v0, v90
	v_mul_f32_e32 v91, 0xbf7ee86f, v76
	v_fmac_f32_e32 v0, 0x3f3d2fb0, v44
	v_mov_b32_e32 v1, v91
	v_add_f32_e32 v0, v0, v8
	v_fmac_f32_e32 v1, 0x3dbcf732, v46
	v_mul_f32_e32 v95, 0xbf2c7751, v75
	v_add_f32_e32 v0, v1, v0
	v_fma_f32 v1, v45, s7, -v95
	v_mul_f32_e32 v96, 0xbf7ee86f, v79
	v_add_f32_e32 v1, v1, v9
	v_fma_f32 v2, v47, s9, -v96
	v_mul_f32_e32 v92, 0xbf4c4adb, v80
	v_add_f32_e32 v1, v2, v1
	v_mov_b32_e32 v2, v92
	v_fmac_f32_e32 v2, 0xbf1a4643, v48
	v_mul_f32_e32 v98, 0xbf4c4adb, v83
	v_add_f32_e32 v0, v2, v0
	v_fma_f32 v2, v49, s11, -v98
	v_mul_f32_e32 v93, 0xbe3c28d5, v84
	v_add_f32_e32 v1, v2, v1
	v_mov_b32_e32 v2, v93
	v_fmac_f32_e32 v2, 0xbf7ba420, v51
	;; [unrolled: 7-line block ×6, first 2 shown]
	v_mul_f32_e32 v107, 0x3eb8f4ab, v128
	v_mul_f32_e32 v110, 0xbf65296c, v71
	v_fma_f32 v3, v74, s6, -v107
	v_add_f32_e32 v2, v2, v0
	v_mov_b32_e32 v0, v110
	v_mul_f32_e32 v111, 0xbf4c4adb, v76
	v_add_f32_e32 v3, v3, v1
	v_fmac_f32_e32 v0, 0x3ee437d1, v44
	v_mov_b32_e32 v1, v111
	v_add_f32_e32 v0, v0, v8
	v_fmac_f32_e32 v1, 0xbf1a4643, v46
	v_mul_f32_e32 v112, 0x3e3c28d5, v80
	v_add_f32_e32 v0, v1, v0
	v_mov_b32_e32 v1, v112
	v_fmac_f32_e32 v1, 0xbf7ba420, v48
	v_mul_f32_e32 v113, 0x3f763a35, v84
	v_add_f32_e32 v0, v1, v0
	v_mov_b32_e32 v1, v113
	;; [unrolled: 4-line block ×6, first 2 shown]
	v_fmac_f32_e32 v1, 0xbf59a7d5, v70
	v_mul_f32_e32 v120, 0xbf65296c, v75
	v_add_f32_e32 v0, v1, v0
	v_fma_f32 v1, v45, s8, -v120
	v_mul_f32_e32 v121, 0xbf4c4adb, v79
	v_add_f32_e32 v1, v1, v9
	v_fma_f32 v4, v47, s11, -v121
	v_mul_f32_e32 v122, 0x3e3c28d5, v83
	v_add_f32_e32 v1, v4, v1
	v_fma_f32 v4, v49, s16, -v122
	v_mul_f32_e32 v123, 0x3f763a35, v88
	v_add_f32_e32 v1, v4, v1
	v_fma_f32 v4, v53, s10, -v123
	v_mul_f32_e32 v124, 0x3f2c7751, v100
	v_add_f32_e32 v1, v4, v1
	v_fma_f32 v4, v60, s7, -v124
	v_mul_f32_e32 v125, 0xbeb8f4ab, v108
	v_add_f32_e32 v1, v4, v1
	v_fma_f32 v4, v64, s6, -v125
	v_mul_f32_e32 v126, 0xbf7ee86f, v118
	v_add_f32_e32 v1, v4, v1
	v_fma_f32 v4, v69, s9, -v126
	v_mul_f32_e32 v127, 0xbf06c442, v128
	v_add_f32_e32 v1, v4, v1
	v_fma_f32 v4, v74, s17, -v127
	v_mul_f32_e32 v129, 0xbf7ee86f, v71
	v_add_f32_e32 v1, v4, v1
	v_mov_b32_e32 v4, v129
	v_mul_f32_e32 v130, 0xbe3c28d5, v76
	v_fmac_f32_e32 v4, 0x3dbcf732, v44
	v_mov_b32_e32 v5, v130
	v_add_f32_e32 v4, v4, v8
	v_fmac_f32_e32 v5, 0xbf7ba420, v46
	v_mul_f32_e32 v134, 0xbf7ee86f, v75
	v_add_f32_e32 v4, v5, v4
	v_fma_f32 v5, v45, s9, -v134
	v_mul_f32_e32 v135, 0xbe3c28d5, v79
	v_add_f32_e32 v5, v5, v9
	v_fma_f32 v6, v47, s16, -v135
	v_mul_f32_e32 v131, 0x3f763a35, v80
	v_add_f32_e32 v5, v6, v5
	v_mov_b32_e32 v6, v131
	v_fmac_f32_e32 v6, 0xbe8c1d8e, v48
	v_mul_f32_e32 v137, 0x3f763a35, v83
	v_add_f32_e32 v4, v6, v4
	v_fma_f32 v6, v49, s10, -v137
	v_mul_f32_e32 v132, 0x3eb8f4ab, v84
	v_add_f32_e32 v5, v6, v5
	v_mov_b32_e32 v6, v132
	v_fmac_f32_e32 v6, 0x3f6eb680, v51
	;; [unrolled: 7-line block ×6, first 2 shown]
	v_mul_f32_e32 v144, 0x3f2c7751, v128
	v_mul_f32_e32 v145, 0xbf763a35, v71
	v_fma_f32 v7, v74, s7, -v144
	v_add_f32_e32 v6, v6, v4
	v_mov_b32_e32 v4, v145
	v_mul_f32_e32 v146, 0x3f06c442, v76
	v_add_f32_e32 v7, v7, v5
	v_fmac_f32_e32 v4, 0xbe8c1d8e, v44
	v_mov_b32_e32 v5, v146
	v_add_f32_e32 v4, v4, v8
	v_fmac_f32_e32 v5, 0xbf59a7d5, v46
	v_mul_f32_e32 v147, 0x3f2c7751, v80
	v_add_f32_e32 v4, v5, v4
	v_mov_b32_e32 v5, v147
	v_fmac_f32_e32 v5, 0x3f3d2fb0, v48
	v_mul_f32_e32 v148, 0xbf65296c, v84
	v_add_f32_e32 v4, v5, v4
	v_mov_b32_e32 v5, v148
	;; [unrolled: 4-line block ×6, first 2 shown]
	v_fmac_f32_e32 v5, 0xbf1a4643, v70
	v_mul_f32_e32 v159, 0xbf763a35, v75
	v_add_f32_e32 v4, v5, v4
	v_fma_f32 v5, v45, s10, -v159
	v_mul_f32_e32 v160, 0x3f06c442, v79
	v_add_f32_e32 v5, v5, v9
	v_fma_f32 v42, v47, s17, -v160
	;; [unrolled: 3-line block ×8, first 2 shown]
	v_add_f32_e32 v5, v42, v5
	s_waitcnt lgkmcnt(0)
	; wave barrier
	s_and_saveexec_b64 s[4:5], vcc
	s_cbranch_execz .LBB0_7
; %bb.6:
	v_mul_f32_e32 v163, 0xbf59a7d5, v45
	v_mov_b32_e32 v42, v163
	v_mul_f32_e32 v164, 0x3ee437d1, v47
	v_fmac_f32_e32 v42, 0x3f06c442, v75
	v_mov_b32_e32 v43, v164
	v_add_f32_e32 v42, v42, v9
	v_fmac_f32_e32 v43, 0xbf65296c, v79
	v_mul_f32_e32 v165, 0x3dbcf732, v49
	v_add_f32_e32 v42, v43, v42
	v_mov_b32_e32 v43, v165
	v_fmac_f32_e32 v43, 0x3f7ee86f, v83
	v_mul_f32_e32 v166, 0xbf1a4643, v53
	v_add_f32_e32 v42, v43, v42
	v_mov_b32_e32 v43, v166
	v_fmac_f32_e32 v43, 0xbf4c4adb, v88
	v_mul_f32_e32 v224, 0x3f6eb680, v60
	v_add_f32_e32 v42, v43, v42
	v_mov_b32_e32 v43, v224
	v_fmac_f32_e32 v43, 0x3eb8f4ab, v100
	v_mul_f32_e32 v225, 0xbf7ba420, v64
	v_add_f32_e32 v42, v43, v42
	v_mov_b32_e32 v43, v225
	v_fmac_f32_e32 v43, 0x3e3c28d5, v108
	v_mul_f32_e32 v226, 0x3f3d2fb0, v69
	v_add_f32_e32 v42, v43, v42
	v_mov_b32_e32 v43, v226
	v_fmac_f32_e32 v43, 0xbf2c7751, v118
	v_mov_b32_e32 v67, v227
	v_mul_f32_e32 v227, 0xbe8c1d8e, v74
	v_add_f32_e32 v42, v43, v42
	v_mov_b32_e32 v43, v227
	v_fmac_f32_e32 v43, 0x3f763a35, v128
	v_mul_f32_e32 v228, 0xbf06c442, v71
	v_add_f32_e32 v43, v43, v42
	v_mov_b32_e32 v42, v228
	v_mul_f32_e32 v229, 0x3f65296c, v76
	v_fmac_f32_e32 v42, 0xbf59a7d5, v44
	v_mov_b32_e32 v161, v229
	v_add_f32_e32 v42, v42, v8
	v_fmac_f32_e32 v161, 0x3ee437d1, v46
	v_mul_f32_e32 v230, 0xbf7ee86f, v80
	v_add_f32_e32 v42, v161, v42
	v_mov_b32_e32 v161, v230
	v_fmac_f32_e32 v161, 0x3dbcf732, v48
	v_mul_f32_e32 v231, 0x3f4c4adb, v84
	v_add_f32_e32 v42, v161, v42
	v_mov_b32_e32 v161, v231
	;; [unrolled: 4-line block ×6, first 2 shown]
	v_fmac_f32_e32 v163, 0xbf06c442, v75
	v_fmac_f32_e32 v161, 0xbe8c1d8e, v70
	v_mul_f32_e32 v236, 0xbe3c28d5, v75
	v_add_f32_e32 v163, v163, v9
	v_fmac_f32_e32 v164, 0x3f65296c, v79
	v_add_f32_e32 v42, v161, v42
	v_mov_b32_e32 v161, v236
	v_mul_f32_e32 v237, 0x3eb8f4ab, v79
	v_add_f32_e32 v163, v164, v163
	v_fmac_f32_e32 v165, 0xbf7ee86f, v83
	v_fmac_f32_e32 v161, 0xbf7ba420, v45
	v_mov_b32_e32 v162, v237
	v_add_f32_e32 v163, v165, v163
	v_fmac_f32_e32 v166, 0x3f4c4adb, v88
	v_fma_f32 v164, v44, s17, -v228
	v_add_f32_e32 v161, v161, v9
	v_fmac_f32_e32 v162, 0x3f6eb680, v47
	v_mul_f32_e32 v238, 0xbf06c442, v83
	v_add_f32_e32 v163, v166, v163
	v_fmac_f32_e32 v224, 0xbeb8f4ab, v100
	v_add_f32_e32 v164, v164, v8
	v_fma_f32 v165, v46, s8, -v229
	v_add_f32_e32 v161, v162, v161
	v_mov_b32_e32 v162, v238
	v_add_f32_e32 v163, v224, v163
	v_fmac_f32_e32 v225, 0xbe3c28d5, v108
	v_add_f32_e32 v164, v165, v164
	v_fma_f32 v165, v48, s9, -v230
	v_fmac_f32_e32 v162, 0xbf59a7d5, v49
	v_mul_f32_e32 v239, 0x3f2c7751, v88
	v_add_f32_e32 v163, v225, v163
	v_fmac_f32_e32 v226, 0x3f2c7751, v118
	v_add_f32_e32 v164, v165, v164
	v_fma_f32 v165, v51, s11, -v231
	v_add_f32_e32 v161, v162, v161
	v_mov_b32_e32 v162, v239
	v_add_f32_e32 v163, v226, v163
	v_add_f32_e32 v164, v165, v164
	v_fma_f32 v165, v55, s6, -v232
	v_fmac_f32_e32 v227, 0xbf763a35, v128
	v_fmac_f32_e32 v162, 0x3f3d2fb0, v53
	v_mul_f32_e32 v240, 0xbf4c4adb, v100
	v_add_f32_e32 v165, v165, v164
	v_add_f32_e32 v164, v227, v163
	v_mul_f32_e32 v227, 0xbf4c4adb, v75
	v_add_f32_e32 v161, v162, v161
	v_mov_b32_e32 v162, v240
	v_mov_b32_e32 v75, v227
	v_mul_f32_e32 v232, 0x3f763a35, v79
	v_fmac_f32_e32 v162, 0xbf1a4643, v60
	v_mul_f32_e32 v241, 0x3f65296c, v108
	v_fmac_f32_e32 v75, 0xbf1a4643, v45
	v_mov_b32_e32 v79, v232
	v_add_f32_e32 v161, v162, v161
	v_mov_b32_e32 v162, v241
	v_fma_f32 v163, v62, s16, -v233
	v_add_f32_e32 v75, v75, v9
	v_fmac_f32_e32 v79, 0xbe8c1d8e, v47
	v_mul_f32_e32 v233, 0xbeb8f4ab, v83
	v_fmac_f32_e32 v162, 0x3ee437d1, v64
	v_mul_f32_e32 v242, 0xbf763a35, v118
	v_add_f32_e32 v75, v79, v75
	v_mov_b32_e32 v79, v233
	v_add_f32_e32 v161, v162, v161
	v_mov_b32_e32 v162, v242
	v_add_f32_e32 v163, v163, v165
	v_fma_f32 v165, v66, s7, -v234
	v_fmac_f32_e32 v79, 0x3f6eb680, v49
	v_mul_f32_e32 v234, 0xbf06c442, v88
	v_fmac_f32_e32 v162, 0xbe8c1d8e, v69
	v_mul_f32_e32 v243, 0x3f7ee86f, v128
	v_add_f32_e32 v75, v79, v75
	v_mov_b32_e32 v79, v234
	v_add_f32_e32 v161, v162, v161
	v_mov_b32_e32 v162, v243
	v_fmac_f32_e32 v79, 0xbf59a7d5, v53
	v_mul_f32_e32 v100, 0x3f7ee86f, v100
	v_fmac_f32_e32 v162, 0x3dbcf732, v74
	v_mul_f32_e32 v244, 0xbe3c28d5, v71
	v_add_f32_e32 v75, v79, v75
	v_mov_b32_e32 v79, v100
	v_add_f32_e32 v162, v162, v161
	v_fma_f32 v161, v44, s16, -v244
	v_mul_f32_e32 v245, 0x3eb8f4ab, v76
	v_fmac_f32_e32 v79, 0x3dbcf732, v60
	v_mul_f32_e32 v108, 0xbf2c7751, v108
	v_add_f32_e32 v161, v161, v8
	v_fma_f32 v246, v46, s6, -v245
	v_add_f32_e32 v75, v79, v75
	v_mov_b32_e32 v79, v108
	v_add_f32_e32 v161, v246, v161
	v_mul_f32_e32 v246, 0xbf06c442, v80
	v_fmac_f32_e32 v79, 0x3f3d2fb0, v64
	v_mul_f32_e32 v118, 0xbe3c28d5, v118
	v_fma_f32 v247, v48, s17, -v246
	v_add_f32_e32 v75, v79, v75
	v_mov_b32_e32 v79, v118
	v_add_f32_e32 v161, v247, v161
	v_mul_f32_e32 v247, 0x3f2c7751, v84
	v_fmac_f32_e32 v79, 0xbf7ba420, v69
	v_mul_f32_e32 v128, 0x3f65296c, v128
	v_fma_f32 v248, v51, s7, -v247
	v_add_f32_e32 v163, v165, v163
	v_fma_f32 v165, v70, s10, -v235
	v_add_f32_e32 v75, v79, v75
	v_mov_b32_e32 v79, v128
	v_mul_f32_e32 v235, 0xbf4c4adb, v71
	v_add_f32_e32 v161, v248, v161
	v_mul_f32_e32 v248, 0xbf4c4adb, v89
	v_fmac_f32_e32 v79, 0x3ee437d1, v74
	v_fma_f32 v71, v44, s11, -v235
	v_mul_f32_e32 v167, 0x3f763a35, v76
	v_fma_f32 v249, v55, s11, -v248
	v_add_f32_e32 v166, v79, v75
	v_add_f32_e32 v71, v71, v8
	v_fma_f32 v75, v46, s10, -v167
	v_mul_f32_e32 v177, 0xbeb8f4ab, v80
	v_add_f32_e32 v161, v249, v161
	v_mul_f32_e32 v249, 0x3f65296c, v102
	v_add_f32_e32 v71, v75, v71
	v_fma_f32 v75, v48, s6, -v177
	v_mul_f32_e32 v187, 0xbf06c442, v84
	v_fma_f32 v250, v62, s8, -v249
	v_add_f32_e32 v71, v75, v71
	v_fma_f32 v75, v51, s17, -v187
	v_mul_f32_e32 v168, 0x3f7ee86f, v89
	v_add_f32_e32 v161, v250, v161
	v_mul_f32_e32 v250, 0xbf763a35, v109
	v_add_f32_e32 v71, v75, v71
	v_fma_f32 v75, v55, s9, -v168
	v_mul_f32_e32 v102, 0xbf2c7751, v102
	v_fma_f32 v251, v66, s10, -v250
	v_add_f32_e32 v71, v75, v71
	v_fma_f32 v75, v62, s7, -v102
	v_mul_f32_e32 v109, 0xbe3c28d5, v109
	v_add_f32_e32 v161, v251, v161
	v_mul_f32_e32 v251, 0x3f7ee86f, v119
	v_add_f32_e32 v71, v75, v71
	v_fma_f32 v75, v66, s16, -v109
	v_mul_f32_e32 v119, 0x3f65296c, v119
	v_mul_f32_e32 v176, 0xbe8c1d8e, v45
	v_add_f32_e32 v71, v75, v71
	v_fma_f32 v75, v70, s8, -v119
	v_mul_f32_e32 v186, 0xbf59a7d5, v47
	v_add_f32_e32 v163, v165, v163
	v_add_f32_e32 v165, v75, v71
	v_add_f32_e32 v75, v159, v176
	v_mul_f32_e32 v196, 0x3f3d2fb0, v49
	v_add_f32_e32 v76, v160, v186
	v_add_f32_e32 v75, v75, v9
	v_mul_f32_e32 v206, 0x3ee437d1, v53
	v_add_f32_e32 v75, v76, v75
	v_add_f32_e32 v76, v158, v196
	;; [unrolled: 3-line block ×7, first 2 shown]
	v_mul_f32_e32 v185, 0xbf59a7d5, v46
	v_add_f32_e32 v76, v75, v71
	v_sub_f32_e32 v71, v175, v145
	v_mul_f32_e32 v195, 0x3f3d2fb0, v48
	v_add_f32_e32 v71, v71, v8
	v_sub_f32_e32 v75, v185, v146
	;; [unrolled: 3-line block ×8, first 2 shown]
	v_mul_f32_e32 v184, 0xbf7ba420, v47
	v_add_f32_e32 v75, v75, v71
	v_add_f32_e32 v71, v134, v174
	v_mul_f32_e32 v194, 0xbe8c1d8e, v49
	v_add_f32_e32 v71, v71, v9
	v_add_f32_e32 v134, v135, v184
	;; [unrolled: 3-line block ×3, first 2 shown]
	v_mul_f32_e32 v214, 0x3ee437d1, v60
	v_fma_f32 v252, v70, s9, -v251
	v_add_f32_e32 v71, v134, v71
	v_add_f32_e32 v134, v139, v204
	;; [unrolled: 1-line block ×3, first 2 shown]
	v_mul_f32_e32 v252, 0xbf59a7d5, v64
	v_add_f32_e32 v71, v134, v71
	v_add_f32_e32 v134, v141, v214
	v_mul_f32_e32 v230, 0xbf1a4643, v69
	v_add_f32_e32 v71, v134, v71
	v_add_f32_e32 v134, v142, v252
	;; [unrolled: 3-line block ×4, first 2 shown]
	v_mul_f32_e32 v183, 0xbf7ba420, v46
	v_add_f32_e32 v80, v80, v71
	v_sub_f32_e32 v71, v173, v129
	v_mul_f32_e32 v193, 0xbe8c1d8e, v48
	v_add_f32_e32 v71, v71, v8
	v_sub_f32_e32 v129, v183, v130
	;; [unrolled: 3-line block ×8, first 2 shown]
	v_mul_f32_e32 v182, 0xbf1a4643, v47
	v_add_f32_e32 v79, v79, v71
	v_add_f32_e32 v71, v120, v172
	v_mul_f32_e32 v192, 0xbf7ba420, v49
	v_add_f32_e32 v71, v71, v9
	v_add_f32_e32 v120, v121, v182
	;; [unrolled: 3-line block ×8, first 2 shown]
	v_mul_f32_e32 v181, 0xbf1a4643, v46
	v_add_f32_e32 v84, v84, v71
	v_sub_f32_e32 v71, v171, v110
	v_mul_f32_e32 v191, 0xbf7ba420, v48
	v_add_f32_e32 v71, v71, v8
	v_sub_f32_e32 v110, v181, v111
	;; [unrolled: 3-line block ×8, first 2 shown]
	v_mul_f32_e32 v180, 0x3dbcf732, v47
	v_add_f32_e32 v83, v83, v71
	v_add_f32_e32 v71, v95, v170
	v_mul_f32_e32 v190, 0xbf1a4643, v49
	v_add_f32_e32 v71, v71, v9
	v_add_f32_e32 v95, v96, v180
	;; [unrolled: 3-line block ×8, first 2 shown]
	v_mul_f32_e32 v179, 0x3dbcf732, v46
	v_add_f32_e32 v89, v89, v71
	v_sub_f32_e32 v71, v169, v90
	v_mul_f32_e32 v189, 0xbf1a4643, v48
	v_add_f32_e32 v71, v71, v8
	v_sub_f32_e32 v90, v179, v91
	v_mul_f32_e32 v199, 0xbf7ba420, v51
	v_add_f32_e32 v71, v90, v71
	v_sub_f32_e32 v90, v189, v92
	v_mul_f32_e32 v209, 0xbf59a7d5, v55
	v_add_f32_e32 v71, v90, v71
	v_sub_f32_e32 v90, v199, v93
	v_mul_f32_e32 v219, 0xbe8c1d8e, v62
	v_add_f32_e32 v71, v90, v71
	v_sub_f32_e32 v90, v209, v94
	v_mul_f32_e32 v224, 0x3ee437d1, v66
	v_add_f32_e32 v71, v90, v71
	v_sub_f32_e32 v90, v219, v97
	v_mul_f32_e32 v88, 0x3f6eb680, v70
	v_add_f32_e32 v71, v90, v71
	v_sub_f32_e32 v90, v224, v99
	v_add_f32_e32 v71, v90, v71
	v_sub_f32_e32 v88, v88, v103
	v_add_f32_e32 v10, v10, v8
	v_add_f32_e32 v88, v88, v71
	v_mul_f32_e32 v71, 0x3f6eb680, v45
	v_add_f32_e32 v11, v11, v9
	v_add_f32_e32 v10, v20, v10
	;; [unrolled: 1-line block ×3, first 2 shown]
	v_mul_f32_e32 v71, 0x3f3d2fb0, v47
	v_add_f32_e32 v11, v21, v11
	v_add_f32_e32 v10, v22, v10
	v_mul_f32_e32 v178, 0x3ee437d1, v49
	v_add_f32_e32 v52, v52, v9
	v_add_f32_e32 v59, v59, v71
	v_add_f32_e32 v11, v23, v11
	v_add_f32_e32 v10, v24, v10
	v_mul_f32_e32 v198, 0x3dbcf732, v53
	v_add_f32_e32 v52, v59, v52
	v_add_f32_e32 v59, v63, v178
	;; [unrolled: 5-line block ×5, first 2 shown]
	v_add_f32_e32 v11, v31, v11
	v_add_f32_e32 v10, v12, v10
	v_fma_f32 v12, v45, s16, -v236
	v_mul_f32_e32 v159, 0xbf7ba420, v74
	v_add_f32_e32 v52, v59, v52
	v_add_f32_e32 v56, v81, v56
	;; [unrolled: 1-line block ×4, first 2 shown]
	v_fma_f32 v13, v47, s6, -v237
	v_add_f32_e32 v52, v56, v52
	v_add_f32_e32 v56, v87, v159
	v_add_f32_e32 v12, v13, v12
	v_fma_f32 v13, v49, s17, -v238
	v_add_f32_e32 v72, v56, v52
	v_mul_f32_e32 v52, 0x3f6eb680, v44
	v_add_f32_e32 v12, v13, v12
	v_fma_f32 v13, v53, s7, -v239
	v_sub_f32_e32 v52, v52, v197
	v_mul_f32_e32 v56, 0x3f3d2fb0, v46
	v_add_f32_e32 v12, v13, v12
	v_fma_f32 v13, v60, s11, -v240
	v_add_f32_e32 v52, v52, v8
	v_sub_f32_e32 v54, v56, v54
	v_add_f32_e32 v10, v14, v10
	v_add_f32_e32 v12, v13, v12
	v_fma_f32 v13, v64, s8, -v241
	v_fma_f32 v14, v45, s11, -v227
	v_add_f32_e32 v52, v54, v52
	v_mul_f32_e32 v54, 0x3ee437d1, v48
	v_add_f32_e32 v12, v13, v12
	v_fma_f32 v13, v69, s10, -v242
	v_add_f32_e32 v9, v14, v9
	v_fma_f32 v14, v47, s10, -v232
	v_sub_f32_e32 v54, v54, v61
	v_add_f32_e32 v11, v15, v11
	v_add_f32_e32 v12, v13, v12
	v_fma_f32 v13, v74, s9, -v243
	v_fmac_f32_e32 v244, 0xbf7ba420, v44
	v_add_f32_e32 v9, v14, v9
	v_fma_f32 v14, v49, s6, -v233
	v_fmac_f32_e32 v235, 0xbf1a4643, v44
	v_add_f32_e32 v52, v54, v52
	v_mul_f32_e32 v54, 0x3dbcf732, v51
	v_add_f32_e32 v11, v17, v11
	v_add_f32_e32 v10, v16, v10
	;; [unrolled: 1-line block ×4, first 2 shown]
	v_fmac_f32_e32 v245, 0x3f6eb680, v46
	v_add_f32_e32 v9, v14, v9
	v_fma_f32 v14, v53, s17, -v234
	v_add_f32_e32 v8, v235, v8
	v_fmac_f32_e32 v167, 0xbe8c1d8e, v46
	v_mul_f32_e32 v207, 0xbe8c1d8e, v55
	v_sub_f32_e32 v54, v54, v65
	v_add_f32_e32 v11, v19, v11
	v_add_f32_e32 v10, v18, v10
	v_add_f32_e32 v12, v245, v12
	v_fmac_f32_e32 v246, 0xbf59a7d5, v48
	v_add_f32_e32 v9, v14, v9
	v_fma_f32 v14, v60, s9, -v100
	v_add_f32_e32 v8, v167, v8
	v_fmac_f32_e32 v177, 0x3f6eb680, v48
	v_mul_f32_e32 v217, 0xbf1a4643, v62
	v_add_f32_e32 v52, v54, v52
	v_sub_f32_e32 v54, v207, v68
	v_add_f32_e32 v11, v33, v11
	v_add_f32_e32 v10, v32, v10
	v_add_f32_e32 v12, v246, v12
	v_fmac_f32_e32 v247, 0x3f3d2fb0, v51
	v_add_f32_e32 v9, v14, v9
	v_fma_f32 v14, v64, s7, -v108
	v_add_f32_e32 v8, v177, v8
	v_fmac_f32_e32 v187, 0xbf59a7d5, v51
	v_mul_f32_e32 v255, 0xbf59a7d5, v66
	v_add_f32_e32 v52, v54, v52
	;; [unrolled: 11-line block ×3, first 2 shown]
	v_sub_f32_e32 v54, v255, v78
	v_add_f32_e32 v11, v37, v11
	v_add_f32_e32 v10, v36, v10
	;; [unrolled: 1-line block ×3, first 2 shown]
	v_fmac_f32_e32 v249, 0x3ee437d1, v62
	v_add_f32_e32 v9, v14, v9
	v_fma_f32 v14, v74, s8, -v128
	v_add_f32_e32 v8, v168, v8
	v_fmac_f32_e32 v102, 0x3f3d2fb0, v62
	v_add_f32_e32 v52, v54, v52
	v_sub_f32_e32 v50, v50, v82
	v_add_f32_e32 v11, v39, v11
	v_add_f32_e32 v10, v38, v10
	;; [unrolled: 1-line block ×3, first 2 shown]
	v_fmac_f32_e32 v250, 0xbe8c1d8e, v66
	v_add_f32_e32 v9, v14, v9
	v_add_f32_e32 v8, v102, v8
	v_fmac_f32_e32 v109, 0xbf7ba420, v66
	v_mul_lo_u16_e32 v14, 17, v85
	v_add_f32_e32 v71, v50, v52
	v_add_f32_e32 v11, v41, v11
	v_add_f32_e32 v10, v40, v10
	v_add_f32_e32 v12, v250, v12
	v_fmac_f32_e32 v251, 0x3dbcf732, v70
	v_mov_b32_e32 v227, v67
	v_add_f32_e32 v8, v109, v8
	v_fmac_f32_e32 v119, 0x3ee437d1, v70
	v_lshlrev_b32_e32 v14, 3, v14
	v_add_f32_e32 v12, v251, v12
	v_add_f32_e32 v8, v119, v8
	ds_write2_b64 v14, v[10:11], v[71:72] offset1:1
	ds_write2_b64 v14, v[88:89], v[83:84] offset0:2 offset1:3
	ds_write2_b64 v14, v[79:80], v[75:76] offset0:4 offset1:5
	;; [unrolled: 1-line block ×7, first 2 shown]
	ds_write_b64 v14, v[57:58] offset:128
.LBB0_7:
	s_or_b64 exec, exec, s[4:5]
	s_load_dwordx4 s[4:7], s[2:3], 0x0
	s_movk_i32 s2, 0xf1
	v_mul_lo_u16_sdwa v8, v85, s2 dst_sel:DWORD dst_unused:UNUSED_PAD src0_sel:BYTE_0 src1_sel:DWORD
	v_lshrrev_b16_e32 v48, 12, v8
	v_mul_lo_u16_e32 v8, 17, v48
	v_sub_u16_e32 v49, v85, v8
	v_lshlrev_b16_e32 v8, 1, v49
	v_and_b32_e32 v8, 0xfe, v8
	v_lshlrev_b32_e32 v16, 3, v8
	v_add_u16_e32 v8, 0x66, v85
	v_mul_lo_u16_sdwa v9, v8, s2 dst_sel:DWORD dst_unused:UNUSED_PAD src0_sel:BYTE_0 src1_sel:DWORD
	v_lshrrev_b16_e32 v50, 12, v9
	v_mul_lo_u16_e32 v9, 17, v50
	v_add_u16_e32 v17, 51, v85
	v_sub_u16_e32 v8, v8, v9
	v_add_u16_e32 v9, 0x99, v85
	v_mul_lo_u16_sdwa v10, v9, s2 dst_sel:DWORD dst_unused:UNUSED_PAD src0_sel:BYTE_0 src1_sel:DWORD
	v_mul_lo_u16_sdwa v18, v17, s2 dst_sel:DWORD dst_unused:UNUSED_PAD src0_sel:BYTE_0 src1_sel:DWORD
	v_and_b32_e32 v51, 0xff, v8
	v_lshrrev_b16_e32 v52, 12, v10
	v_lshrrev_b16_e32 v54, 12, v18
	v_lshlrev_b32_e32 v8, 4, v51
	v_mul_lo_u16_e32 v10, 17, v52
	v_mul_lo_u16_e32 v18, 17, v54
	s_waitcnt lgkmcnt(0)
	; wave barrier
	s_waitcnt lgkmcnt(0)
	global_load_dwordx4 v[12:15], v8, s[0:1]
	global_load_dwordx4 v[20:23], v16, s[0:1]
	v_sub_u16_e32 v8, v9, v10
	v_sub_u16_e32 v16, v17, v18
	v_and_b32_e32 v53, 0xff, v8
	v_and_b32_e32 v55, 0xff, v16
	v_lshlrev_b32_e32 v8, 4, v53
	v_lshlrev_b32_e32 v16, 4, v55
	global_load_dwordx4 v[8:11], v8, s[0:1]
	v_mov_b32_e32 v56, 3
	global_load_dwordx4 v[16:19], v16, s[0:1]
	v_lshlrev_b32_sdwa v87, v56, v85 dst_sel:DWORD dst_unused:UNUSED_PAD src0_sel:DWORD src1_sel:WORD_0
	v_add_u32_e32 v74, 0x800, v87
	v_add_u32_e32 v73, 0xc00, v87
	ds_read2_b64 v[24:27], v87 offset1:51
	ds_read2_b64 v[28:31], v87 offset0:204 offset1:255
	ds_read2_b64 v[32:35], v74 offset0:50 offset1:101
	;; [unrolled: 1-line block ×5, first 2 shown]
	v_mad_legacy_u16 v48, v48, 51, v49
	v_lshlrev_b32_sdwa v89, v56, v48 dst_sel:DWORD dst_unused:UNUSED_PAD src0_sel:DWORD src1_sel:BYTE_0
	s_waitcnt lgkmcnt(0)
	; wave barrier
	s_waitcnt lgkmcnt(0)
	s_movk_i32 s10, 0x1000
	v_lshlrev_b32_e32 v88, 3, v85
	s_waitcnt vmcnt(3)
	v_mul_f32_e32 v60, v32, v13
	s_waitcnt vmcnt(2)
	v_mul_f32_e32 v67, v29, v21
	v_mul_f32_e32 v68, v28, v21
	;; [unrolled: 1-line block ×4, first 2 shown]
	v_fma_f32 v28, v28, v20, -v67
	v_fmac_f32_e32 v68, v29, v20
	v_fma_f32 v29, v44, v22, -v69
	v_mul_f32_e32 v61, v37, v15
	s_waitcnt vmcnt(1)
	v_mul_f32_e32 v63, v35, v9
	s_waitcnt vmcnt(0)
	v_mul_f32_e32 v72, v30, v17
	v_mul_f32_e32 v64, v34, v9
	;; [unrolled: 1-line block ×4, first 2 shown]
	v_fmac_f32_e32 v70, v45, v22
	v_fmac_f32_e32 v72, v31, v16
	v_add_f32_e32 v31, v28, v29
	v_mul_f32_e32 v59, v33, v13
	v_mul_f32_e32 v62, v36, v15
	v_fmac_f32_e32 v60, v33, v12
	v_fma_f32 v61, v36, v14, -v61
	v_fma_f32 v63, v34, v8, -v63
	v_fmac_f32_e32 v64, v35, v8
	v_fma_f32 v35, v30, v16, -v71
	v_fma_f32 v36, v46, v18, -v75
	v_add_f32_e32 v30, v24, v28
	v_add_f32_e32 v33, v25, v68
	v_add_f32_e32 v34, v68, v70
	v_fma_f32 v24, -0.5, v31, v24
	v_mul_f32_e32 v76, v46, v19
	v_fma_f32 v59, v32, v12, -v59
	v_fmac_f32_e32 v62, v37, v14
	v_sub_f32_e32 v32, v68, v70
	v_sub_f32_e32 v37, v28, v29
	v_add_f32_e32 v28, v30, v29
	v_add_f32_e32 v29, v33, v70
	v_fma_f32 v25, -0.5, v34, v25
	v_mov_b32_e32 v30, v24
	v_add_f32_e32 v33, v35, v36
	v_fmac_f32_e32 v76, v47, v18
	v_fmac_f32_e32 v24, 0xbf5db3d7, v32
	v_mov_b32_e32 v31, v25
	v_fmac_f32_e32 v30, 0x3f5db3d7, v32
	v_add_f32_e32 v32, v26, v35
	v_fma_f32 v26, -0.5, v33, v26
	v_fmac_f32_e32 v25, 0x3f5db3d7, v37
	v_fmac_f32_e32 v31, 0xbf5db3d7, v37
	v_sub_f32_e32 v33, v72, v76
	v_mov_b32_e32 v34, v26
	v_add_f32_e32 v37, v72, v76
	v_mul_f32_e32 v65, v39, v11
	v_mul_f32_e32 v66, v38, v11
	v_fmac_f32_e32 v34, 0x3f5db3d7, v33
	v_fmac_f32_e32 v26, 0xbf5db3d7, v33
	v_add_f32_e32 v33, v27, v72
	v_fmac_f32_e32 v27, -0.5, v37
	v_add_f32_e32 v37, v59, v61
	v_fma_f32 v65, v38, v10, -v65
	v_fmac_f32_e32 v66, v39, v10
	v_add_f32_e32 v32, v32, v36
	v_sub_f32_e32 v36, v35, v36
	v_mov_b32_e32 v35, v27
	v_fma_f32 v38, -0.5, v37, v40
	v_add_f32_e32 v39, v60, v62
	v_fmac_f32_e32 v35, 0xbf5db3d7, v36
	v_fmac_f32_e32 v27, 0x3f5db3d7, v36
	v_add_f32_e32 v36, v40, v59
	v_sub_f32_e32 v37, v60, v62
	v_mov_b32_e32 v40, v38
	v_fma_f32 v39, -0.5, v39, v41
	v_fmac_f32_e32 v40, 0x3f5db3d7, v37
	v_fmac_f32_e32 v38, 0xbf5db3d7, v37
	v_add_f32_e32 v37, v41, v60
	v_sub_f32_e32 v44, v59, v61
	v_mov_b32_e32 v41, v39
	v_add_f32_e32 v45, v63, v65
	v_fmac_f32_e32 v41, 0xbf5db3d7, v44
	v_fmac_f32_e32 v39, 0x3f5db3d7, v44
	v_add_f32_e32 v44, v42, v63
	v_fma_f32 v42, -0.5, v45, v42
	v_add_f32_e32 v36, v36, v61
	v_add_f32_e32 v37, v37, v62
	v_sub_f32_e32 v45, v64, v66
	v_mov_b32_e32 v46, v42
	v_add_f32_e32 v47, v64, v66
	ds_write2_b64 v89, v[28:29], v[30:31] offset1:17
	ds_write_b64 v89, v[24:25] offset:272
	v_mul_u32_u24_e32 v24, 51, v54
	v_mad_u64_u32 v[61:62], s[0:1], v85, 40, s[0:1]
	v_fmac_f32_e32 v46, 0x3f5db3d7, v45
	v_fmac_f32_e32 v42, 0xbf5db3d7, v45
	v_add_f32_e32 v45, v43, v64
	v_fmac_f32_e32 v43, -0.5, v47
	v_add_lshl_u32 v90, v24, v55, 3
	v_mul_u32_u24_e32 v24, 51, v50
	v_sub_f32_e32 v59, v63, v65
	v_mov_b32_e32 v47, v43
	v_add_lshl_u32 v91, v24, v51, 3
	v_mul_u32_u24_e32 v24, 51, v52
	v_add_f32_e32 v33, v33, v76
	v_add_f32_e32 v44, v44, v65
	;; [unrolled: 1-line block ×3, first 2 shown]
	v_fmac_f32_e32 v47, 0xbf5db3d7, v59
	v_fmac_f32_e32 v43, 0x3f5db3d7, v59
	v_add_lshl_u32 v92, v24, v53, 3
	ds_write2_b64 v90, v[32:33], v[34:35] offset1:17
	ds_write_b64 v90, v[26:27] offset:272
	ds_write2_b64 v91, v[36:37], v[40:41] offset1:17
	ds_write_b64 v91, v[38:39] offset:272
	;; [unrolled: 2-line block ×3, first 2 shown]
	s_waitcnt lgkmcnt(0)
	; wave barrier
	s_waitcnt lgkmcnt(0)
	global_load_dwordx4 v[28:31], v[61:62], off offset:272
	global_load_dwordx4 v[24:27], v[61:62], off offset:288
	global_load_dwordx2 v[59:60], v[61:62], off offset:304
	ds_read2_b64 v[32:35], v87 offset1:51
	ds_read2_b64 v[36:39], v87 offset0:102 offset1:153
	ds_read2_b64 v[40:43], v87 offset0:204 offset1:255
	;; [unrolled: 1-line block ×5, first 2 shown]
	s_waitcnt lgkmcnt(0)
	; wave barrier
	s_waitcnt vmcnt(2) lgkmcnt(0)
	v_mul_f32_e32 v56, v37, v29
	v_mul_f32_e32 v63, v36, v29
	v_fma_f32 v56, v36, v28, -v56
	v_mul_f32_e32 v36, v41, v31
	v_fmac_f32_e32 v63, v37, v28
	v_fma_f32 v36, v40, v30, -v36
	v_mul_f32_e32 v37, v40, v31
	s_waitcnt vmcnt(1)
	v_mul_f32_e32 v40, v45, v25
	v_fmac_f32_e32 v37, v41, v30
	v_fma_f32 v40, v44, v24, -v40
	v_mul_f32_e32 v41, v44, v25
	v_mul_f32_e32 v44, v49, v27
	v_fmac_f32_e32 v41, v45, v24
	v_fma_f32 v44, v48, v26, -v44
	v_mul_f32_e32 v45, v48, v27
	s_waitcnt vmcnt(0)
	v_mul_f32_e32 v48, v53, v60
	v_fmac_f32_e32 v45, v49, v26
	v_fma_f32 v48, v52, v59, -v48
	v_mul_f32_e32 v49, v52, v60
	v_mul_f32_e32 v52, v39, v29
	v_fmac_f32_e32 v49, v53, v59
	v_fma_f32 v52, v38, v28, -v52
	v_mul_f32_e32 v53, v38, v29
	v_mul_f32_e32 v38, v43, v31
	v_fma_f32 v64, v42, v30, -v38
	v_mul_f32_e32 v38, v47, v25
	v_fma_f32 v66, v46, v24, -v38
	v_mul_f32_e32 v46, v46, v25
	v_mul_f32_e32 v38, v51, v27
	v_fmac_f32_e32 v46, v47, v24
	v_fma_f32 v47, v50, v26, -v38
	v_mul_f32_e32 v50, v50, v27
	v_mul_f32_e32 v38, v55, v60
	v_fmac_f32_e32 v50, v51, v26
	v_fma_f32 v51, v54, v59, -v38
	v_add_f32_e32 v38, v32, v36
	v_mul_f32_e32 v65, v42, v31
	v_add_f32_e32 v42, v38, v44
	v_add_f32_e32 v38, v36, v44
	v_fmac_f32_e32 v65, v43, v30
	v_mul_f32_e32 v54, v54, v60
	v_fma_f32 v43, -0.5, v38, v32
	v_fmac_f32_e32 v54, v55, v59
	v_sub_f32_e32 v32, v37, v45
	v_mov_b32_e32 v55, v43
	v_fmac_f32_e32 v55, 0x3f5db3d7, v32
	v_fmac_f32_e32 v43, 0xbf5db3d7, v32
	v_add_f32_e32 v32, v33, v37
	v_add_f32_e32 v67, v32, v45
	;; [unrolled: 1-line block ×3, first 2 shown]
	v_fma_f32 v45, -0.5, v32, v33
	v_sub_f32_e32 v32, v36, v44
	v_mov_b32_e32 v68, v45
	v_fmac_f32_e32 v68, 0xbf5db3d7, v32
	v_fmac_f32_e32 v45, 0x3f5db3d7, v32
	v_add_f32_e32 v32, v56, v40
	v_add_f32_e32 v44, v32, v48
	;; [unrolled: 1-line block ×3, first 2 shown]
	v_fmac_f32_e32 v56, -0.5, v32
	v_sub_f32_e32 v32, v41, v49
	v_mov_b32_e32 v37, v56
	v_fmac_f32_e32 v37, 0x3f5db3d7, v32
	v_fmac_f32_e32 v56, 0xbf5db3d7, v32
	v_add_f32_e32 v32, v63, v41
	v_add_f32_e32 v69, v32, v49
	;; [unrolled: 1-line block ×3, first 2 shown]
	v_fmac_f32_e32 v63, -0.5, v32
	v_fmac_f32_e32 v53, v39, v28
	v_sub_f32_e32 v32, v40, v48
	v_mov_b32_e32 v39, v63
	v_fmac_f32_e32 v39, 0xbf5db3d7, v32
	v_fmac_f32_e32 v63, 0x3f5db3d7, v32
	v_mul_f32_e32 v48, -0.5, v56
	v_mul_f32_e32 v41, 0x3f5db3d7, v39
	v_fmac_f32_e32 v48, 0x3f5db3d7, v63
	v_add_f32_e32 v32, v42, v44
	v_fmac_f32_e32 v41, 0.5, v37
	v_add_f32_e32 v38, v43, v48
	v_sub_f32_e32 v40, v42, v44
	v_sub_f32_e32 v44, v43, v48
	v_add_f32_e32 v48, v34, v64
	v_add_f32_e32 v36, v55, v41
	v_sub_f32_e32 v42, v55, v41
	v_add_f32_e32 v55, v48, v47
	v_add_f32_e32 v48, v64, v47
	v_mul_f32_e32 v63, -0.5, v63
	v_fma_f32 v34, -0.5, v48, v34
	v_fmac_f32_e32 v63, 0xbf5db3d7, v56
	v_sub_f32_e32 v48, v65, v50
	v_mov_b32_e32 v56, v34
	v_mul_f32_e32 v49, 0xbf5db3d7, v37
	v_fmac_f32_e32 v56, 0x3f5db3d7, v48
	v_fmac_f32_e32 v34, 0xbf5db3d7, v48
	v_add_f32_e32 v48, v35, v65
	v_fmac_f32_e32 v49, 0.5, v39
	v_add_f32_e32 v39, v45, v63
	v_sub_f32_e32 v45, v45, v63
	v_add_f32_e32 v63, v48, v50
	v_add_f32_e32 v48, v65, v50
	v_fmac_f32_e32 v35, -0.5, v48
	v_sub_f32_e32 v47, v64, v47
	v_mov_b32_e32 v64, v35
	v_fmac_f32_e32 v64, 0xbf5db3d7, v47
	v_fmac_f32_e32 v35, 0x3f5db3d7, v47
	v_add_f32_e32 v47, v52, v66
	v_add_f32_e32 v65, v47, v51
	;; [unrolled: 1-line block ×3, first 2 shown]
	v_fmac_f32_e32 v52, -0.5, v47
	v_add_f32_e32 v37, v68, v49
	v_sub_f32_e32 v43, v68, v49
	v_sub_f32_e32 v47, v46, v54
	v_mov_b32_e32 v49, v52
	v_fmac_f32_e32 v49, 0x3f5db3d7, v47
	v_fmac_f32_e32 v52, 0xbf5db3d7, v47
	v_add_f32_e32 v47, v53, v46
	v_add_f32_e32 v46, v46, v54
	v_fmac_f32_e32 v53, -0.5, v46
	v_sub_f32_e32 v46, v66, v51
	v_mov_b32_e32 v51, v53
	v_fmac_f32_e32 v51, 0xbf5db3d7, v46
	v_fmac_f32_e32 v53, 0x3f5db3d7, v46
	v_add_f32_e32 v33, v67, v69
	v_sub_f32_e32 v41, v67, v69
	v_add_f32_e32 v67, v47, v54
	v_mul_f32_e32 v54, 0x3f5db3d7, v51
	v_mul_f32_e32 v66, -0.5, v52
	v_mul_f32_e32 v68, 0xbf5db3d7, v49
	v_mul_f32_e32 v69, -0.5, v53
	v_fmac_f32_e32 v54, 0.5, v49
	v_fmac_f32_e32 v66, 0x3f5db3d7, v53
	v_fmac_f32_e32 v68, 0.5, v51
	v_fmac_f32_e32 v69, 0xbf5db3d7, v52
	v_add_f32_e32 v46, v55, v65
	v_add_f32_e32 v48, v56, v54
	;; [unrolled: 1-line block ×6, first 2 shown]
	v_sub_f32_e32 v52, v55, v65
	v_sub_f32_e32 v54, v56, v54
	;; [unrolled: 1-line block ×6, first 2 shown]
	ds_write2_b64 v87, v[32:33], v[36:37] offset1:51
	ds_write2_b64 v87, v[38:39], v[40:41] offset0:102 offset1:153
	ds_write2_b64 v87, v[42:43], v[44:45] offset0:204 offset1:255
	;; [unrolled: 1-line block ×5, first 2 shown]
	v_lshlrev_b32_e32 v32, 5, v85
	v_sub_co_u32_e64 v32, s[0:1], v61, v32
	v_subbrev_co_u32_e64 v33, s[0:1], 0, v62, s[0:1]
	s_waitcnt lgkmcnt(0)
	; wave barrier
	s_waitcnt lgkmcnt(0)
	global_load_dwordx2 v[61:62], v[32:33], off offset:2312
	global_load_dwordx2 v[63:64], v[32:33], off offset:2720
	;; [unrolled: 1-line block ×5, first 2 shown]
	v_add_co_u32_e64 v32, s[0:1], s10, v32
	v_addc_co_u32_e64 v33, s[0:1], 0, v33, s[0:1]
	global_load_dwordx2 v[71:72], v[32:33], off offset:256
	ds_read2_b64 v[38:41], v87 offset1:51
	ds_read2_b64 v[32:35], v74 offset0:50 offset1:101
	ds_read2_b64 v[46:49], v87 offset0:102 offset1:153
	;; [unrolled: 1-line block ×5, first 2 shown]
	s_waitcnt vmcnt(5) lgkmcnt(4)
	v_mul_f32_e32 v36, v33, v62
	v_fma_f32 v36, v32, v61, -v36
	v_mul_f32_e32 v32, v32, v62
	v_fmac_f32_e32 v32, v33, v61
	s_waitcnt vmcnt(4)
	v_mul_f32_e32 v33, v35, v64
	v_fma_f32 v37, v34, v63, -v33
	s_waitcnt vmcnt(3) lgkmcnt(2)
	v_mul_f32_e32 v33, v43, v66
	v_fma_f32 v55, v42, v65, -v33
	s_waitcnt vmcnt(2)
	v_mul_f32_e32 v33, v45, v68
	v_fma_f32 v79, v44, v67, -v33
	s_waitcnt vmcnt(1) lgkmcnt(0)
	v_mul_f32_e32 v33, v51, v70
	v_mul_f32_e32 v54, v34, v64
	;; [unrolled: 1-line block ×3, first 2 shown]
	v_fma_f32 v80, v50, v69, -v33
	s_waitcnt vmcnt(0)
	v_mul_f32_e32 v33, v53, v72
	v_fmac_f32_e32 v54, v35, v63
	v_fmac_f32_e32 v56, v43, v65
	v_mul_f32_e32 v44, v44, v68
	v_mul_f32_e32 v81, v50, v70
	v_fma_f32 v82, v52, v71, -v33
	v_mul_f32_e32 v52, v52, v72
	v_sub_f32_e32 v34, v38, v36
	v_sub_f32_e32 v35, v39, v32
	v_fmac_f32_e32 v44, v45, v67
	v_fmac_f32_e32 v81, v51, v69
	;; [unrolled: 1-line block ×3, first 2 shown]
	v_fma_f32 v32, v38, 2.0, -v34
	v_fma_f32 v33, v39, 2.0, -v35
	v_sub_f32_e32 v38, v40, v37
	v_sub_f32_e32 v39, v41, v54
	;; [unrolled: 1-line block ×4, first 2 shown]
	v_fma_f32 v36, v40, 2.0, -v38
	v_fma_f32 v37, v41, 2.0, -v39
	;; [unrolled: 1-line block ×4, first 2 shown]
	v_sub_f32_e32 v46, v48, v79
	v_sub_f32_e32 v47, v49, v44
	;; [unrolled: 1-line block ×6, first 2 shown]
	v_fma_f32 v44, v48, 2.0, -v46
	v_fma_f32 v45, v49, 2.0, -v47
	;; [unrolled: 1-line block ×6, first 2 shown]
	ds_write2_b64 v87, v[32:33], v[36:37] offset1:51
	ds_write2_b64 v74, v[34:35], v[38:39] offset0:50 offset1:101
	ds_write2_b64 v87, v[40:41], v[44:45] offset0:102 offset1:153
	;; [unrolled: 1-line block ×5, first 2 shown]
	s_waitcnt lgkmcnt(0)
	; wave barrier
	s_waitcnt lgkmcnt(0)
	s_and_saveexec_b64 s[2:3], vcc
	s_cbranch_execz .LBB0_9
; %bb.8:
	s_add_u32 s8, s12, 0x1320
	s_addc_u32 s9, s13, 0
	global_load_dwordx2 v[73:74], v86, s[8:9]
	global_load_dwordx2 v[105:106], v86, s[8:9] offset:288
	global_load_dwordx2 v[107:108], v86, s[8:9] offset:576
	;; [unrolled: 1-line block ×12, first 2 shown]
	v_mov_b32_e32 v77, s9
	v_add_co_u32_e64 v78, s[0:1], s8, v86
	v_addc_co_u32_e64 v79, s[0:1], 0, v77, s[0:1]
	global_load_dwordx2 v[129:130], v86, s[8:9] offset:3744
	global_load_dwordx2 v[131:132], v86, s[8:9] offset:4032
	v_add_co_u32_e64 v77, s[0:1], s10, v78
	v_addc_co_u32_e64 v78, s[0:1], 0, v79, s[0:1]
	global_load_dwordx2 v[133:134], v[77:78], off offset:224
	v_or_b32_e32 v77, 0x1200, v86
	global_load_dwordx2 v[135:136], v77, s[8:9]
	ds_read_b64 v[75:76], v87
	v_add_u32_e32 v56, 0x400, v88
	v_add_u32_e32 v139, 0x800, v88
	s_waitcnt vmcnt(16) lgkmcnt(0)
	v_mul_f32_e32 v77, v76, v74
	v_mul_f32_e32 v78, v75, v74
	v_fma_f32 v77, v75, v73, -v77
	v_fmac_f32_e32 v78, v76, v73
	ds_write_b64 v87, v[77:78]
	ds_read2_b64 v[73:76], v88 offset0:36 offset1:72
	ds_read2_b64 v[77:80], v88 offset0:108 offset1:144
	;; [unrolled: 1-line block ×6, first 2 shown]
	s_waitcnt vmcnt(15) lgkmcnt(5)
	v_mul_f32_e32 v137, v74, v106
	v_mul_f32_e32 v138, v73, v106
	s_waitcnt vmcnt(14)
	v_mul_f32_e32 v140, v76, v108
	v_mul_f32_e32 v106, v75, v108
	s_waitcnt vmcnt(13) lgkmcnt(4)
	v_mul_f32_e32 v141, v78, v110
	v_mul_f32_e32 v108, v77, v110
	s_waitcnt vmcnt(12)
	v_mul_f32_e32 v142, v80, v112
	v_mul_f32_e32 v110, v79, v112
	s_waitcnt vmcnt(11) lgkmcnt(3)
	v_mul_f32_e32 v143, v82, v114
	v_mul_f32_e32 v112, v81, v114
	s_waitcnt vmcnt(10)
	v_mul_f32_e32 v144, v84, v116
	v_mul_f32_e32 v114, v83, v116
	s_waitcnt vmcnt(9) lgkmcnt(2)
	v_mul_f32_e32 v145, v94, v118
	v_mul_f32_e32 v116, v93, v118
	s_waitcnt vmcnt(8)
	v_mul_f32_e32 v146, v96, v120
	v_mul_f32_e32 v118, v95, v120
	s_waitcnt vmcnt(7) lgkmcnt(1)
	v_mul_f32_e32 v147, v98, v122
	v_mul_f32_e32 v120, v97, v122
	s_waitcnt vmcnt(6)
	v_mul_f32_e32 v148, v100, v124
	v_mul_f32_e32 v122, v99, v124
	v_fma_f32 v137, v73, v105, -v137
	v_fmac_f32_e32 v138, v74, v105
	v_fma_f32 v105, v75, v107, -v140
	v_fmac_f32_e32 v106, v76, v107
	;; [unrolled: 2-line block ×10, first 2 shown]
	ds_write2_b64 v88, v[137:138], v[105:106] offset0:36 offset1:72
	ds_write2_b64 v88, v[107:108], v[109:110] offset0:108 offset1:144
	;; [unrolled: 1-line block ×5, first 2 shown]
	s_waitcnt vmcnt(5) lgkmcnt(5)
	v_mul_f32_e32 v149, v102, v126
	v_mul_f32_e32 v124, v101, v126
	s_waitcnt vmcnt(4)
	v_mul_f32_e32 v126, v104, v128
	ds_read2_b64 v[73:76], v139 offset0:212 offset1:248
	v_mul_f32_e32 v78, v103, v128
	v_fma_f32 v123, v101, v125, -v149
	v_fmac_f32_e32 v124, v102, v125
	v_fma_f32 v77, v103, v127, -v126
	v_fmac_f32_e32 v78, v104, v127
	v_add_u32_e32 v83, 0x1000, v88
	ds_write2_b64 v139, v[123:124], v[77:78] offset0:140 offset1:176
	ds_read2_b64 v[77:80], v83 offset0:28 offset1:64
	s_waitcnt vmcnt(3) lgkmcnt(2)
	v_mul_f32_e32 v56, v74, v130
	v_mul_f32_e32 v82, v73, v130
	v_fma_f32 v81, v73, v129, -v56
	v_fmac_f32_e32 v82, v74, v129
	s_waitcnt vmcnt(2)
	v_mul_f32_e32 v56, v76, v132
	v_mul_f32_e32 v74, v75, v132
	v_fma_f32 v73, v75, v131, -v56
	v_fmac_f32_e32 v74, v76, v131
	s_waitcnt vmcnt(1) lgkmcnt(0)
	v_mul_f32_e32 v56, v78, v134
	ds_write2_b64 v139, v[81:82], v[73:74] offset0:212 offset1:248
	v_fma_f32 v73, v77, v133, -v56
	v_mul_f32_e32 v74, v77, v134
	s_waitcnt vmcnt(0)
	v_mul_f32_e32 v56, v80, v136
	v_mul_f32_e32 v76, v79, v136
	v_fmac_f32_e32 v74, v78, v133
	v_fma_f32 v75, v79, v135, -v56
	v_fmac_f32_e32 v76, v80, v135
	ds_write2_b64 v83, v[73:74], v[75:76] offset0:28 offset1:64
.LBB0_9:
	s_or_b64 exec, exec, s[2:3]
	s_waitcnt lgkmcnt(0)
	; wave barrier
	s_waitcnt lgkmcnt(0)
	s_and_saveexec_b64 s[0:1], vcc
	s_cbranch_execz .LBB0_11
; %bb.10:
	ds_read2_b64 v[32:35], v87 offset1:36
	ds_read2_b64 v[36:39], v87 offset0:72 offset1:108
	ds_read2_b64 v[40:43], v87 offset0:144 offset1:180
	;; [unrolled: 1-line block ×3, first 2 shown]
	v_add_u32_e32 v0, 0x800, v87
	ds_read2_b64 v[48:51], v0 offset0:32 offset1:68
	ds_read2_b64 v[52:55], v0 offset0:104 offset1:140
	;; [unrolled: 1-line block ×3, first 2 shown]
	v_add_u32_e32 v0, 0xc00, v87
	ds_read2_b64 v[0:3], v0 offset0:120 offset1:156
	ds_read_b64 v[57:58], v87 offset:4608
.LBB0_11:
	s_or_b64 exec, exec, s[0:1]
	s_waitcnt lgkmcnt(0)
	; wave barrier
	s_waitcnt lgkmcnt(0)
	s_and_saveexec_b64 s[0:1], vcc
	s_cbranch_execz .LBB0_13
; %bb.12:
	v_sub_f32_e32 v93, v34, v57
	v_mul_f32_e32 v56, 0xbf06c442, v93
	v_sub_f32_e32 v94, v36, v2
	v_add_f32_e32 v113, v58, v35
	v_mov_b32_e32 v73, v56
	v_mul_f32_e32 v77, 0x3f65296c, v94
	v_fmac_f32_e32 v73, 0xbf59a7d5, v113
	v_add_f32_e32 v117, v3, v37
	v_mov_b32_e32 v74, v77
	v_sub_f32_e32 v95, v38, v0
	v_add_f32_e32 v73, v33, v73
	v_fmac_f32_e32 v74, 0x3ee437d1, v117
	v_mul_f32_e32 v78, 0xbf7ee86f, v95
	v_add_f32_e32 v73, v74, v73
	v_add_f32_e32 v123, v1, v39
	v_mov_b32_e32 v74, v78
	v_sub_f32_e32 v96, v40, v6
	v_fmac_f32_e32 v74, 0x3dbcf732, v123
	v_mul_f32_e32 v79, 0x3f4c4adb, v96
	v_add_f32_e32 v73, v74, v73
	v_add_f32_e32 v124, v7, v41
	v_mov_b32_e32 v74, v79
	v_sub_f32_e32 v97, v42, v4
	;; [unrolled: 6-line block ×6, first 2 shown]
	s_mov_b32 s2, 0xbf59a7d5
	v_fmac_f32_e32 v74, 0xbe8c1d8e, v128
	v_add_f32_e32 v101, v57, v34
	v_mul_f32_e32 v84, 0xbf06c442, v129
	v_sub_f32_e32 v130, v37, v3
	s_mov_b32 s3, 0x3ee437d1
	v_add_f32_e32 v74, v74, v73
	v_fma_f32 v73, v101, s2, -v84
	v_add_f32_e32 v102, v2, v36
	v_mul_f32_e32 v119, 0x3f65296c, v130
	v_sub_f32_e32 v131, v39, v1
	s_mov_b32 s8, 0x3dbcf732
	v_add_f32_e32 v73, v32, v73
	v_fma_f32 v75, v102, s3, -v119
	;; [unrolled: 6-line block ×7, first 2 shown]
	v_add_f32_e32 v108, v50, v48
	v_mul_f32_e32 v139, 0xbf763a35, v138
	v_add_f32_e32 v73, v75, v73
	v_fma_f32 v75, v108, s17, -v139
	v_mul_f32_e32 v109, 0xbf7ba420, v113
	v_add_f32_e32 v73, v75, v73
	v_mov_b32_e32 v75, v109
	v_mul_f32_e32 v110, 0x3f6eb680, v117
	v_fmac_f32_e32 v75, 0x3e3c28d5, v93
	v_mov_b32_e32 v76, v110
	v_add_f32_e32 v75, v33, v75
	v_fmac_f32_e32 v76, 0xbeb8f4ab, v94
	v_mul_f32_e32 v111, 0xbf59a7d5, v123
	v_add_f32_e32 v75, v76, v75
	v_mov_b32_e32 v76, v111
	v_fmac_f32_e32 v76, 0x3f06c442, v95
	v_mul_f32_e32 v112, 0x3f3d2fb0, v124
	v_add_f32_e32 v75, v76, v75
	v_mov_b32_e32 v76, v112
	;; [unrolled: 4-line block ×6, first 2 shown]
	v_fmac_f32_e32 v76, 0xbf7ee86f, v100
	v_mul_f32_e32 v140, 0xbe3c28d5, v129
	v_fma_f32 v56, v113, s2, -v56
	v_add_f32_e32 v76, v76, v75
	v_mov_b32_e32 v75, v140
	v_mul_f32_e32 v141, 0x3eb8f4ab, v130
	v_add_f32_e32 v56, v33, v56
	v_fma_f32 v77, v117, s3, -v77
	v_fmac_f32_e32 v75, 0xbf7ba420, v101
	v_mov_b32_e32 v142, v141
	v_add_f32_e32 v56, v77, v56
	v_fma_f32 v77, v123, s8, -v78
	v_add_f32_e32 v75, v32, v75
	v_fmac_f32_e32 v142, 0x3f6eb680, v102
	v_add_f32_e32 v56, v77, v56
	v_fma_f32 v77, v124, s9, -v79
	v_add_f32_e32 v75, v142, v75
	v_mul_f32_e32 v142, 0xbf06c442, v131
	v_add_f32_e32 v56, v77, v56
	v_fma_f32 v77, v125, s11, -v80
	v_mov_b32_e32 v143, v142
	v_add_f32_e32 v56, v77, v56
	v_fma_f32 v77, v126, s10, -v81
	v_fmac_f32_e32 v143, 0xbf59a7d5, v103
	v_add_f32_e32 v56, v77, v56
	v_fma_f32 v77, v127, s16, -v82
	v_add_f32_e32 v75, v143, v75
	v_mul_f32_e32 v143, 0x3f2c7751, v132
	v_add_f32_e32 v56, v77, v56
	v_fma_f32 v77, v128, s17, -v83
	v_fmac_f32_e32 v84, 0xbf59a7d5, v101
	v_mov_b32_e32 v144, v143
	v_add_f32_e32 v78, v77, v56
	v_add_f32_e32 v56, v32, v84
	v_fmac_f32_e32 v119, 0x3ee437d1, v102
	v_fmac_f32_e32 v144, 0x3f3d2fb0, v104
	v_add_f32_e32 v56, v119, v56
	v_fmac_f32_e32 v120, 0x3dbcf732, v103
	v_add_f32_e32 v75, v144, v75
	v_mul_f32_e32 v144, 0xbf4c4adb, v133
	v_add_f32_e32 v56, v120, v56
	v_fmac_f32_e32 v121, 0xbf1a4643, v104
	v_mov_b32_e32 v145, v144
	v_add_f32_e32 v56, v121, v56
	v_fmac_f32_e32 v122, 0x3f6eb680, v105
	v_fmac_f32_e32 v145, 0xbf1a4643, v105
	v_add_f32_e32 v56, v122, v56
	v_fmac_f32_e32 v135, 0xbf7ba420, v106
	v_add_f32_e32 v75, v145, v75
	v_mul_f32_e32 v145, 0x3f65296c, v134
	v_add_f32_e32 v56, v135, v56
	v_fmac_f32_e32 v137, 0x3f3d2fb0, v107
	v_mov_b32_e32 v146, v145
	v_add_f32_e32 v56, v137, v56
	v_fmac_f32_e32 v139, 0xbe8c1d8e, v108
	v_fmac_f32_e32 v146, 0x3ee437d1, v106
	v_add_f32_e32 v77, v139, v56
	v_mul_f32_e32 v56, 0xbf1a4643, v113
	v_add_f32_e32 v75, v146, v75
	v_mul_f32_e32 v146, 0xbf763a35, v136
	v_mov_b32_e32 v79, v56
	v_mul_f32_e32 v135, 0xbe8c1d8e, v117
	v_mov_b32_e32 v147, v146
	v_fmac_f32_e32 v79, 0x3f4c4adb, v93
	v_mov_b32_e32 v80, v135
	v_fmac_f32_e32 v147, 0xbe8c1d8e, v107
	v_add_f32_e32 v79, v33, v79
	v_fmac_f32_e32 v80, 0xbf763a35, v94
	v_mul_f32_e32 v137, 0x3f6eb680, v123
	v_add_f32_e32 v75, v147, v75
	v_mul_f32_e32 v147, 0x3f7ee86f, v138
	v_add_f32_e32 v79, v80, v79
	v_mov_b32_e32 v80, v137
	v_mov_b32_e32 v148, v147
	v_fmac_f32_e32 v80, 0x3eb8f4ab, v95
	v_mul_f32_e32 v139, 0xbf59a7d5, v124
	v_fmac_f32_e32 v148, 0x3dbcf732, v108
	v_add_f32_e32 v79, v80, v79
	v_mov_b32_e32 v80, v139
	v_add_f32_e32 v75, v148, v75
	v_fmac_f32_e32 v80, 0x3f06c442, v96
	v_mul_f32_e32 v148, 0x3dbcf732, v125
	v_add_f32_e32 v79, v80, v79
	v_mov_b32_e32 v80, v148
	v_fmac_f32_e32 v80, 0xbf7ee86f, v97
	v_mul_f32_e32 v149, 0x3f3d2fb0, v126
	v_add_f32_e32 v79, v80, v79
	v_mov_b32_e32 v80, v149
	v_fmac_f32_e32 v80, 0x3f2c7751, v98
	v_mul_f32_e32 v150, 0xbf7ba420, v127
	v_add_f32_e32 v79, v80, v79
	v_mov_b32_e32 v80, v150
	v_fmac_f32_e32 v80, 0x3e3c28d5, v99
	v_mul_f32_e32 v151, 0x3ee437d1, v128
	v_add_f32_e32 v79, v80, v79
	v_mov_b32_e32 v80, v151
	v_fmac_f32_e32 v80, 0xbf65296c, v100
	v_mul_f32_e32 v152, 0xbf4c4adb, v129
	v_add_f32_e32 v80, v80, v79
	v_mov_b32_e32 v79, v152
	v_mul_f32_e32 v153, 0x3f763a35, v130
	v_fmac_f32_e32 v79, 0xbf1a4643, v101
	v_mov_b32_e32 v81, v153
	v_add_f32_e32 v79, v32, v79
	v_fmac_f32_e32 v81, 0xbe8c1d8e, v102
	v_mul_f32_e32 v154, 0xbeb8f4ab, v131
	v_add_f32_e32 v79, v81, v79
	v_mov_b32_e32 v81, v154
	v_fmac_f32_e32 v81, 0x3f6eb680, v103
	v_mul_f32_e32 v155, 0xbf06c442, v132
	v_add_f32_e32 v79, v81, v79
	v_mov_b32_e32 v81, v155
	v_fmac_f32_e32 v81, 0xbf59a7d5, v104
	v_mul_f32_e32 v156, 0x3f7ee86f, v133
	v_add_f32_e32 v79, v81, v79
	v_mov_b32_e32 v81, v156
	v_fmac_f32_e32 v81, 0x3dbcf732, v105
	v_mul_f32_e32 v157, 0xbf2c7751, v134
	v_add_f32_e32 v79, v81, v79
	v_mov_b32_e32 v81, v157
	v_fmac_f32_e32 v81, 0x3f3d2fb0, v106
	v_mul_f32_e32 v158, 0xbe3c28d5, v136
	v_add_f32_e32 v79, v81, v79
	v_mov_b32_e32 v81, v158
	v_fmac_f32_e32 v81, 0xbf7ba420, v107
	v_mul_f32_e32 v159, 0x3f65296c, v138
	v_add_f32_e32 v79, v81, v79
	v_mov_b32_e32 v81, v159
	v_fmac_f32_e32 v81, 0x3ee437d1, v108
	v_mul_f32_e32 v160, 0xbe8c1d8e, v113
	v_add_f32_e32 v79, v81, v79
	v_mov_b32_e32 v81, v160
	v_mul_f32_e32 v161, 0xbf59a7d5, v117
	v_fmac_f32_e32 v81, 0x3f763a35, v93
	v_mov_b32_e32 v82, v161
	v_add_f32_e32 v81, v33, v81
	v_fmac_f32_e32 v82, 0xbf06c442, v94
	v_mul_f32_e32 v162, 0x3f3d2fb0, v123
	v_add_f32_e32 v81, v82, v81
	v_mov_b32_e32 v82, v162
	v_fmac_f32_e32 v82, 0xbf2c7751, v95
	v_mul_f32_e32 v163, 0x3ee437d1, v124
	v_add_f32_e32 v81, v82, v81
	v_mov_b32_e32 v82, v163
	;; [unrolled: 32-line block ×3, first 2 shown]
	v_fmac_f32_e32 v83, 0x3ee437d1, v104
	v_mul_f32_e32 v172, 0xbe3c28d5, v133
	v_add_f32_e32 v81, v83, v81
	v_mov_b32_e32 v83, v172
	v_fmac_f32_e32 v83, 0xbf7ba420, v105
	v_mul_f32_e32 v173, 0x3f7ee86f, v134
	v_add_f32_e32 v81, v83, v81
	v_mov_b32_e32 v83, v173
	;; [unrolled: 4-line block ×5, first 2 shown]
	v_mul_f32_e32 v177, 0xbf7ba420, v117
	v_fmac_f32_e32 v83, 0x3f7ee86f, v93
	v_mov_b32_e32 v84, v177
	v_add_f32_e32 v35, v35, v33
	v_add_f32_e32 v83, v33, v83
	v_fmac_f32_e32 v84, 0x3e3c28d5, v94
	v_mul_f32_e32 v178, 0xbe8c1d8e, v123
	v_add_f32_e32 v35, v37, v35
	v_add_f32_e32 v83, v84, v83
	v_mov_b32_e32 v84, v178
	v_add_f32_e32 v35, v39, v35
	v_fmac_f32_e32 v84, 0xbf763a35, v95
	v_mul_f32_e32 v179, 0x3f6eb680, v124
	v_add_f32_e32 v35, v41, v35
	v_add_f32_e32 v83, v84, v83
	v_mov_b32_e32 v84, v179
	;; [unrolled: 6-line block ×7, first 2 shown]
	v_mul_f32_e32 v185, 0xbe3c28d5, v130
	v_add_f32_e32 v1, v3, v1
	v_add_f32_e32 v3, v34, v32
	v_fmac_f32_e32 v83, 0x3dbcf732, v101
	v_mov_b32_e32 v119, v185
	v_add_f32_e32 v3, v36, v3
	v_add_f32_e32 v83, v32, v83
	v_fmac_f32_e32 v119, 0xbf7ba420, v102
	v_mul_f32_e32 v186, 0x3f763a35, v131
	v_add_f32_e32 v3, v38, v3
	v_add_f32_e32 v83, v119, v83
	v_mov_b32_e32 v119, v186
	v_add_f32_e32 v3, v40, v3
	v_fmac_f32_e32 v119, 0xbe8c1d8e, v103
	v_mul_f32_e32 v187, 0x3eb8f4ab, v132
	v_add_f32_e32 v3, v42, v3
	v_add_f32_e32 v83, v119, v83
	v_mov_b32_e32 v119, v187
	v_add_f32_e32 v3, v44, v3
	v_fmac_f32_e32 v119, 0x3f6eb680, v104
	v_mul_f32_e32 v188, 0xbf65296c, v133
	v_add_f32_e32 v3, v46, v3
	v_add_f32_e32 v83, v119, v83
	v_mov_b32_e32 v119, v188
	v_add_f32_e32 v3, v48, v3
	v_fmac_f32_e32 v119, 0x3ee437d1, v105
	v_mul_f32_e32 v189, 0xbf06c442, v134
	v_add_f32_e32 v3, v50, v3
	v_add_f32_e32 v83, v119, v83
	v_mov_b32_e32 v119, v189
	v_add_f32_e32 v3, v52, v3
	v_fmac_f32_e32 v119, 0xbf59a7d5, v106
	v_mul_f32_e32 v190, 0x3f4c4adb, v136
	v_add_f32_e32 v3, v54, v3
	v_add_f32_e32 v83, v119, v83
	v_mov_b32_e32 v119, v190
	v_add_f32_e32 v3, v4, v3
	v_fmac_f32_e32 v119, 0xbf1a4643, v107
	v_mul_f32_e32 v191, 0x3f2c7751, v138
	v_add_f32_e32 v3, v6, v3
	v_add_f32_e32 v83, v119, v83
	v_mov_b32_e32 v119, v191
	v_add_f32_e32 v0, v0, v3
	v_fmac_f32_e32 v109, 0xbe3c28d5, v93
	v_fmac_f32_e32 v119, 0x3f3d2fb0, v108
	v_mul_f32_e32 v192, 0x3ee437d1, v113
	v_add_f32_e32 v0, v2, v0
	v_add_f32_e32 v2, v33, v109
	v_fmac_f32_e32 v110, 0x3eb8f4ab, v94
	v_add_f32_e32 v83, v119, v83
	v_mov_b32_e32 v119, v192
	v_mul_f32_e32 v193, 0xbf1a4643, v117
	v_add_f32_e32 v2, v110, v2
	v_fmac_f32_e32 v111, 0xbf06c442, v95
	v_fmac_f32_e32 v119, 0x3f65296c, v93
	v_mov_b32_e32 v120, v193
	v_add_f32_e32 v2, v111, v2
	v_fmac_f32_e32 v112, 0x3f2c7751, v96
	v_add_f32_e32 v119, v33, v119
	v_fmac_f32_e32 v120, 0x3f4c4adb, v94
	v_mul_f32_e32 v194, 0xbf7ba420, v123
	v_add_f32_e32 v2, v112, v2
	v_fmac_f32_e32 v114, 0xbf4c4adb, v97
	v_add_f32_e32 v119, v120, v119
	v_mov_b32_e32 v120, v194
	v_add_f32_e32 v2, v114, v2
	v_fmac_f32_e32 v115, 0x3f65296c, v98
	v_fmac_f32_e32 v120, 0xbe3c28d5, v95
	v_mul_f32_e32 v195, 0xbe8c1d8e, v124
	v_add_f32_e32 v2, v115, v2
	v_fmac_f32_e32 v116, 0xbf763a35, v99
	v_add_f32_e32 v119, v120, v119
	v_mov_b32_e32 v120, v195
	v_add_f32_e32 v2, v116, v2
	v_fmac_f32_e32 v118, 0x3f7ee86f, v100
	v_fmac_f32_e32 v120, 0xbf763a35, v96
	v_mul_f32_e32 v196, 0x3f3d2fb0, v125
	v_add_f32_e32 v3, v118, v2
	v_fma_f32 v2, v101, s10, -v140
	v_add_f32_e32 v119, v120, v119
	v_mov_b32_e32 v120, v196
	v_add_f32_e32 v2, v32, v2
	v_fma_f32 v4, v102, s11, -v141
	v_fmac_f32_e32 v120, 0xbf2c7751, v97
	v_mul_f32_e32 v197, 0x3f6eb680, v126
	v_add_f32_e32 v2, v4, v2
	v_fma_f32 v4, v103, s2, -v142
	v_add_f32_e32 v119, v120, v119
	v_mov_b32_e32 v120, v197
	v_add_f32_e32 v2, v4, v2
	v_fma_f32 v4, v104, s16, -v143
	v_fmac_f32_e32 v120, 0x3eb8f4ab, v98
	v_mul_f32_e32 v198, 0x3dbcf732, v127
	v_add_f32_e32 v2, v4, v2
	v_fma_f32 v4, v105, s9, -v144
	v_add_f32_e32 v119, v120, v119
	v_mov_b32_e32 v120, v198
	v_add_f32_e32 v2, v4, v2
	v_fma_f32 v4, v106, s3, -v145
	v_fmac_f32_e32 v120, 0x3f7ee86f, v99
	v_mul_f32_e32 v199, 0xbf59a7d5, v128
	v_add_f32_e32 v2, v4, v2
	v_fma_f32 v4, v107, s17, -v146
	v_add_f32_e32 v119, v120, v119
	v_mov_b32_e32 v120, v199
	v_add_f32_e32 v2, v4, v2
	v_fma_f32 v4, v108, s8, -v147
	v_fmac_f32_e32 v56, 0xbf4c4adb, v93
	v_fmac_f32_e32 v120, 0x3f06c442, v100
	v_mul_f32_e32 v200, 0xbf65296c, v129
	v_add_f32_e32 v2, v4, v2
	v_add_f32_e32 v4, v33, v56
	v_fmac_f32_e32 v135, 0x3f763a35, v94
	v_add_f32_e32 v120, v120, v119
	v_mov_b32_e32 v119, v200
	v_mul_f32_e32 v201, 0xbf4c4adb, v130
	v_add_f32_e32 v4, v135, v4
	v_fmac_f32_e32 v137, 0xbeb8f4ab, v95
	v_fmac_f32_e32 v119, 0x3ee437d1, v101
	v_mov_b32_e32 v121, v201
	v_add_f32_e32 v4, v137, v4
	v_fmac_f32_e32 v139, 0xbf06c442, v96
	v_add_f32_e32 v119, v32, v119
	v_fmac_f32_e32 v121, 0xbf1a4643, v102
	v_mul_f32_e32 v202, 0x3e3c28d5, v131
	v_add_f32_e32 v4, v139, v4
	v_fmac_f32_e32 v148, 0x3f7ee86f, v97
	v_add_f32_e32 v119, v121, v119
	v_mov_b32_e32 v121, v202
	v_add_f32_e32 v4, v148, v4
	v_fmac_f32_e32 v149, 0xbf2c7751, v98
	v_fmac_f32_e32 v121, 0xbf7ba420, v103
	v_mul_f32_e32 v203, 0x3f763a35, v132
	v_add_f32_e32 v4, v149, v4
	v_fmac_f32_e32 v150, 0xbe3c28d5, v99
	v_add_f32_e32 v119, v121, v119
	v_mov_b32_e32 v121, v203
	v_add_f32_e32 v4, v150, v4
	v_fmac_f32_e32 v151, 0x3f65296c, v100
	v_fmac_f32_e32 v121, 0xbe8c1d8e, v104
	v_mul_f32_e32 v204, 0x3f2c7751, v133
	v_add_f32_e32 v5, v151, v4
	v_fma_f32 v4, v101, s9, -v152
	v_add_f32_e32 v119, v121, v119
	v_mov_b32_e32 v121, v204
	v_add_f32_e32 v4, v32, v4
	v_fma_f32 v6, v102, s17, -v153
	v_fmac_f32_e32 v121, 0x3f3d2fb0, v105
	v_mul_f32_e32 v205, 0xbeb8f4ab, v134
	v_add_f32_e32 v4, v6, v4
	v_fma_f32 v6, v103, s11, -v154
	v_add_f32_e32 v119, v121, v119
	v_mov_b32_e32 v121, v205
	v_add_f32_e32 v4, v6, v4
	v_fma_f32 v6, v104, s2, -v155
	v_fmac_f32_e32 v121, 0x3f6eb680, v106
	v_mul_f32_e32 v206, 0xbf7ee86f, v136
	v_add_f32_e32 v4, v6, v4
	v_fma_f32 v6, v105, s8, -v156
	v_add_f32_e32 v119, v121, v119
	v_mov_b32_e32 v121, v206
	v_add_f32_e32 v4, v6, v4
	v_fma_f32 v6, v106, s16, -v157
	v_fmac_f32_e32 v121, 0x3dbcf732, v107
	v_mul_f32_e32 v207, 0xbf06c442, v138
	v_add_f32_e32 v4, v6, v4
	v_fma_f32 v6, v107, s10, -v158
	v_add_f32_e32 v119, v121, v119
	v_mov_b32_e32 v121, v207
	v_add_f32_e32 v4, v6, v4
	v_fma_f32 v6, v108, s3, -v159
	;; [unrolled: 64-line block ×3, first 2 shown]
	v_fmac_f32_e32 v176, 0xbf7ee86f, v93
	v_fmac_f32_e32 v122, 0xbeb8f4ab, v100
	v_mul_f32_e32 v216, 0xbf2c7751, v129
	v_add_f32_e32 v6, v34, v6
	v_add_f32_e32 v34, v33, v176
	v_fmac_f32_e32 v177, 0xbe3c28d5, v94
	v_add_f32_e32 v122, v122, v121
	v_mov_b32_e32 v121, v216
	v_mul_f32_e32 v217, 0xbf7ee86f, v130
	v_add_f32_e32 v34, v177, v34
	v_fmac_f32_e32 v178, 0x3f763a35, v95
	v_fmac_f32_e32 v121, 0x3f3d2fb0, v101
	v_mov_b32_e32 v218, v217
	v_add_f32_e32 v34, v178, v34
	v_fmac_f32_e32 v179, 0x3eb8f4ab, v96
	v_add_f32_e32 v121, v32, v121
	v_fmac_f32_e32 v218, 0x3dbcf732, v102
	;; [unrolled: 2-line block ×3, first 2 shown]
	v_add_f32_e32 v121, v218, v121
	v_mul_f32_e32 v218, 0xbf4c4adb, v131
	v_add_f32_e32 v34, v180, v34
	v_fmac_f32_e32 v181, 0xbf06c442, v98
	v_mov_b32_e32 v219, v218
	v_add_f32_e32 v34, v181, v34
	v_fmac_f32_e32 v182, 0x3f4c4adb, v99
	v_fmac_f32_e32 v219, 0xbf1a4643, v103
	v_add_f32_e32 v34, v182, v34
	v_fmac_f32_e32 v183, 0x3f2c7751, v100
	v_add_f32_e32 v121, v219, v121
	v_mul_f32_e32 v219, 0xbe3c28d5, v132
	v_add_f32_e32 v35, v183, v34
	v_fma_f32 v34, v101, s8, -v184
	v_mov_b32_e32 v220, v219
	v_add_f32_e32 v34, v32, v34
	v_fma_f32 v36, v102, s10, -v185
	v_fmac_f32_e32 v220, 0xbf7ba420, v104
	v_add_f32_e32 v34, v36, v34
	v_fma_f32 v36, v103, s17, -v186
	v_add_f32_e32 v121, v220, v121
	v_mul_f32_e32 v220, 0x3f06c442, v133
	v_add_f32_e32 v34, v36, v34
	v_fma_f32 v36, v104, s11, -v187
	v_mov_b32_e32 v221, v220
	v_add_f32_e32 v34, v36, v34
	v_fma_f32 v36, v105, s3, -v188
	v_fmac_f32_e32 v221, 0xbf59a7d5, v105
	v_add_f32_e32 v34, v36, v34
	v_fma_f32 v36, v106, s2, -v189
	v_add_f32_e32 v121, v221, v121
	v_mul_f32_e32 v221, 0x3f763a35, v134
	v_add_f32_e32 v34, v36, v34
	v_fma_f32 v36, v107, s9, -v190
	v_mov_b32_e32 v222, v221
	v_add_f32_e32 v34, v36, v34
	v_fma_f32 v36, v108, s16, -v191
	v_fmac_f32_e32 v192, 0xbf65296c, v93
	v_fmac_f32_e32 v222, 0xbe8c1d8e, v106
	v_add_f32_e32 v34, v36, v34
	v_add_f32_e32 v36, v33, v192
	v_fmac_f32_e32 v193, 0xbf4c4adb, v94
	v_add_f32_e32 v121, v222, v121
	v_mul_f32_e32 v222, 0x3f65296c, v136
	v_add_f32_e32 v36, v193, v36
	v_fmac_f32_e32 v194, 0x3e3c28d5, v95
	v_mov_b32_e32 v223, v222
	v_add_f32_e32 v36, v194, v36
	v_fmac_f32_e32 v195, 0x3f763a35, v96
	v_fmac_f32_e32 v223, 0x3ee437d1, v107
	v_add_f32_e32 v36, v195, v36
	v_fmac_f32_e32 v196, 0x3f2c7751, v97
	v_add_f32_e32 v121, v223, v121
	v_mul_f32_e32 v223, 0x3eb8f4ab, v138
	v_add_f32_e32 v36, v196, v36
	v_fmac_f32_e32 v197, 0xbeb8f4ab, v98
	v_mov_b32_e32 v224, v223
	v_add_f32_e32 v36, v197, v36
	v_fmac_f32_e32 v198, 0xbf7ee86f, v99
	v_fmac_f32_e32 v224, 0x3f6eb680, v108
	v_mul_f32_e32 v113, 0x3f6eb680, v113
	v_add_f32_e32 v36, v198, v36
	v_fmac_f32_e32 v199, 0xbf06c442, v100
	v_add_f32_e32 v121, v224, v121
	v_mov_b32_e32 v224, v113
	v_mul_f32_e32 v117, 0x3f3d2fb0, v117
	v_add_f32_e32 v37, v199, v36
	v_fma_f32 v36, v101, s3, -v200
	v_fmac_f32_e32 v224, 0x3eb8f4ab, v93
	v_mov_b32_e32 v225, v117
	v_add_f32_e32 v36, v32, v36
	v_fma_f32 v38, v102, s9, -v201
	v_add_f32_e32 v224, v33, v224
	v_fmac_f32_e32 v225, 0x3f2c7751, v94
	v_add_f32_e32 v36, v38, v36
	v_fma_f32 v38, v103, s10, -v202
	v_add_f32_e32 v224, v225, v224
	v_mul_f32_e32 v225, 0x3ee437d1, v123
	v_add_f32_e32 v36, v38, v36
	v_fma_f32 v38, v104, s17, -v203
	v_mov_b32_e32 v123, v225
	v_add_f32_e32 v36, v38, v36
	v_fma_f32 v38, v105, s16, -v204
	v_fmac_f32_e32 v123, 0x3f65296c, v95
	v_add_f32_e32 v36, v38, v36
	v_fma_f32 v38, v106, s11, -v205
	v_add_f32_e32 v123, v123, v224
	v_mul_f32_e32 v224, 0x3dbcf732, v124
	v_add_f32_e32 v36, v38, v36
	v_fma_f32 v38, v107, s8, -v206
	v_mov_b32_e32 v124, v224
	v_add_f32_e32 v36, v38, v36
	v_fma_f32 v38, v108, s2, -v207
	v_fmac_f32_e32 v208, 0xbf2c7751, v93
	v_fmac_f32_e32 v124, 0x3f7ee86f, v96
	v_mul_f32_e32 v125, 0xbe8c1d8e, v125
	v_add_f32_e32 v36, v38, v36
	v_add_f32_e32 v38, v33, v208
	v_fmac_f32_e32 v209, 0xbf7ee86f, v94
	v_add_f32_e32 v123, v124, v123
	v_mov_b32_e32 v124, v125
	v_add_f32_e32 v38, v209, v38
	v_fmac_f32_e32 v210, 0xbf4c4adb, v95
	v_fmac_f32_e32 v124, 0x3f763a35, v97
	v_mul_f32_e32 v126, 0xbf1a4643, v126
	v_add_f32_e32 v38, v210, v38
	v_fmac_f32_e32 v211, 0xbe3c28d5, v96
	v_add_f32_e32 v123, v124, v123
	v_mov_b32_e32 v124, v126
	v_add_f32_e32 v38, v211, v38
	v_fmac_f32_e32 v212, 0x3f06c442, v97
	v_fmac_f32_e32 v124, 0x3f4c4adb, v98
	v_mul_f32_e32 v127, 0xbf59a7d5, v127
	;; [unrolled: 8-line block ×3, first 2 shown]
	v_add_f32_e32 v38, v214, v38
	v_fmac_f32_e32 v215, 0x3eb8f4ab, v100
	v_add_f32_e32 v123, v124, v123
	v_mov_b32_e32 v124, v128
	v_add_f32_e32 v39, v215, v38
	v_fma_f32 v38, v101, s16, -v216
	v_fmac_f32_e32 v124, 0x3e3c28d5, v100
	v_mul_f32_e32 v129, 0xbeb8f4ab, v129
	v_add_f32_e32 v38, v32, v38
	v_fma_f32 v40, v102, s8, -v217
	v_add_f32_e32 v124, v124, v123
	v_mov_b32_e32 v123, v129
	v_mul_f32_e32 v130, 0xbf2c7751, v130
	v_add_f32_e32 v38, v40, v38
	v_fma_f32 v40, v103, s9, -v218
	v_fmac_f32_e32 v123, 0x3f6eb680, v101
	v_mov_b32_e32 v226, v130
	v_add_f32_e32 v38, v40, v38
	v_fma_f32 v40, v104, s10, -v219
	v_add_f32_e32 v123, v32, v123
	v_fmac_f32_e32 v226, 0x3f3d2fb0, v102
	v_mul_f32_e32 v131, 0xbf65296c, v131
	v_add_f32_e32 v38, v40, v38
	v_fma_f32 v40, v105, s2, -v220
	v_add_f32_e32 v123, v226, v123
	v_mov_b32_e32 v226, v131
	v_add_f32_e32 v38, v40, v38
	v_fma_f32 v40, v106, s17, -v221
	v_fmac_f32_e32 v226, 0x3ee437d1, v103
	v_mul_f32_e32 v132, 0xbf7ee86f, v132
	v_add_f32_e32 v38, v40, v38
	v_fma_f32 v40, v107, s3, -v222
	v_add_f32_e32 v123, v226, v123
	v_mov_b32_e32 v226, v132
	v_add_f32_e32 v38, v40, v38
	v_fma_f32 v40, v108, s11, -v223
	;; [unrolled: 8-line block ×3, first 2 shown]
	v_fmac_f32_e32 v226, 0xbe8c1d8e, v105
	v_mul_f32_e32 v134, 0xbf4c4adb, v134
	v_fmac_f32_e32 v113, 0xbeb8f4ab, v93
	v_add_f32_e32 v32, v40, v32
	v_fma_f32 v40, v103, s3, -v131
	v_add_f32_e32 v123, v226, v123
	v_mov_b32_e32 v226, v134
	v_add_f32_e32 v33, v33, v113
	v_fmac_f32_e32 v117, 0xbf2c7751, v94
	v_add_f32_e32 v32, v40, v32
	v_fma_f32 v40, v104, s8, -v132
	v_fmac_f32_e32 v226, 0xbf1a4643, v106
	v_mul_f32_e32 v136, 0xbf06c442, v136
	v_add_f32_e32 v33, v117, v33
	v_fmac_f32_e32 v225, 0xbf65296c, v95
	v_add_f32_e32 v32, v40, v32
	v_fma_f32 v40, v105, s17, -v133
	v_add_f32_e32 v123, v226, v123
	v_mov_b32_e32 v226, v136
	v_add_f32_e32 v33, v225, v33
	v_fmac_f32_e32 v224, 0xbf7ee86f, v96
	v_add_f32_e32 v32, v40, v32
	v_fma_f32 v40, v106, s9, -v134
	v_fmac_f32_e32 v226, 0xbf59a7d5, v107
	v_mul_f32_e32 v138, 0xbe3c28d5, v138
	v_add_f32_e32 v33, v224, v33
	v_fmac_f32_e32 v125, 0xbf763a35, v97
	v_add_f32_e32 v32, v40, v32
	v_fma_f32 v40, v107, s2, -v136
	v_add_f32_e32 v123, v226, v123
	v_mov_b32_e32 v226, v138
	v_add_f32_e32 v33, v125, v33
	v_fmac_f32_e32 v126, 0xbf4c4adb, v98
	v_add_f32_e32 v32, v40, v32
	v_fma_f32 v40, v108, s10, -v138
	v_fmac_f32_e32 v226, 0xbf7ba420, v108
	v_add_f32_e32 v33, v126, v33
	v_fmac_f32_e32 v127, 0xbf06c442, v99
	v_add_f32_e32 v32, v40, v32
	v_mul_lo_u16_e32 v40, 17, v85
	v_add_f32_e32 v123, v226, v123
	v_add_f32_e32 v1, v58, v1
	;; [unrolled: 1-line block ×4, first 2 shown]
	v_fmac_f32_e32 v128, 0xbe3c28d5, v100
	v_lshlrev_b32_e32 v40, 3, v40
	v_add_f32_e32 v33, v128, v33
	ds_write2_b64 v40, v[0:1], v[123:124] offset1:1
	ds_write2_b64 v40, v[121:122], v[119:120] offset0:2 offset1:3
	ds_write2_b64 v40, v[83:84], v[81:82] offset0:4 offset1:5
	;; [unrolled: 1-line block ×7, first 2 shown]
	ds_write_b64 v40, v[32:33] offset:128
.LBB0_13:
	s_or_b64 exec, exec, s[0:1]
	s_waitcnt lgkmcnt(0)
	; wave barrier
	s_waitcnt lgkmcnt(0)
	ds_read2_b64 v[0:3], v87 offset1:51
	ds_read2_b64 v[4:7], v87 offset0:204 offset1:255
	v_add_u32_e32 v48, 0x800, v87
	ds_read2_b64 v[32:35], v48 offset0:152 offset1:203
	ds_read2_b64 v[36:39], v87 offset0:102 offset1:153
	;; [unrolled: 1-line block ×3, first 2 shown]
	v_add_u32_e32 v49, 0xc00, v87
	ds_read2_b64 v[44:47], v49 offset0:126 offset1:177
	s_waitcnt lgkmcnt(4)
	v_mul_f32_e32 v50, v21, v5
	v_fmac_f32_e32 v50, v20, v4
	v_mul_f32_e32 v4, v21, v4
	v_fma_f32 v20, v20, v5, -v4
	s_waitcnt lgkmcnt(3)
	v_mul_f32_e32 v21, v23, v33
	v_mul_f32_e32 v4, v23, v32
	v_fmac_f32_e32 v21, v22, v32
	v_fma_f32 v22, v22, v33, -v4
	v_mul_f32_e32 v23, v17, v7
	v_mul_f32_e32 v4, v17, v6
	v_fmac_f32_e32 v23, v16, v6
	v_fma_f32 v16, v16, v7, -v4
	;; [unrolled: 4-line block ×3, first 2 shown]
	s_waitcnt lgkmcnt(1)
	v_mul_f32_e32 v4, v13, v40
	v_fma_f32 v32, v12, v41, -v4
	s_waitcnt lgkmcnt(0)
	v_mul_f32_e32 v4, v15, v44
	v_mul_f32_e32 v33, v15, v45
	v_fma_f32 v15, v14, v45, -v4
	v_mul_f32_e32 v4, v9, v42
	v_fma_f32 v35, v8, v43, -v4
	v_mul_f32_e32 v4, v11, v46
	v_add_f32_e32 v5, v50, v21
	v_mul_f32_e32 v19, v13, v41
	v_fma_f32 v41, v10, v47, -v4
	v_add_f32_e32 v4, v0, v50
	v_fma_f32 v0, -0.5, v5, v0
	v_sub_f32_e32 v5, v20, v22
	v_mov_b32_e32 v6, v0
	v_add_f32_e32 v7, v20, v22
	v_mul_f32_e32 v34, v9, v43
	v_fmac_f32_e32 v6, 0xbf5db3d7, v5
	v_fmac_f32_e32 v0, 0x3f5db3d7, v5
	v_add_f32_e32 v5, v1, v20
	v_fma_f32 v1, -0.5, v7, v1
	v_fmac_f32_e32 v19, v12, v40
	v_fmac_f32_e32 v33, v14, v44
	v_fmac_f32_e32 v34, v8, v42
	v_sub_f32_e32 v8, v50, v21
	v_mov_b32_e32 v7, v1
	v_add_f32_e32 v9, v23, v17
	v_mul_f32_e32 v40, v11, v47
	v_fmac_f32_e32 v7, 0x3f5db3d7, v8
	v_fmac_f32_e32 v1, 0xbf5db3d7, v8
	v_add_f32_e32 v8, v2, v23
	v_fma_f32 v2, -0.5, v9, v2
	v_add_f32_e32 v13, v19, v33
	v_fmac_f32_e32 v40, v10, v46
	v_sub_f32_e32 v9, v16, v18
	v_mov_b32_e32 v10, v2
	v_fma_f32 v14, -0.5, v13, v36
	v_fmac_f32_e32 v10, 0xbf5db3d7, v9
	v_fmac_f32_e32 v2, 0x3f5db3d7, v9
	v_add_f32_e32 v9, v3, v16
	v_add_f32_e32 v11, v16, v18
	v_sub_f32_e32 v13, v32, v15
	v_mov_b32_e32 v16, v14
	v_fmac_f32_e32 v16, 0xbf5db3d7, v13
	v_fmac_f32_e32 v14, 0x3f5db3d7, v13
	v_add_f32_e32 v13, v37, v32
	v_fmac_f32_e32 v3, -0.5, v11
	v_add_f32_e32 v13, v13, v15
	v_add_f32_e32 v15, v32, v15
	v_sub_f32_e32 v12, v23, v17
	v_mov_b32_e32 v11, v3
	v_fma_f32 v15, -0.5, v15, v37
	v_add_f32_e32 v8, v8, v17
	v_add_f32_e32 v9, v9, v18
	v_fmac_f32_e32 v11, 0x3f5db3d7, v12
	v_fmac_f32_e32 v3, 0xbf5db3d7, v12
	v_add_f32_e32 v12, v36, v19
	v_sub_f32_e32 v18, v19, v33
	v_mov_b32_e32 v17, v15
	v_add_f32_e32 v19, v34, v40
	v_fmac_f32_e32 v17, 0x3f5db3d7, v18
	v_fmac_f32_e32 v15, 0xbf5db3d7, v18
	v_add_f32_e32 v18, v38, v34
	v_fma_f32 v38, -0.5, v19, v38
	v_add_f32_e32 v4, v4, v21
	v_sub_f32_e32 v19, v35, v41
	v_mov_b32_e32 v20, v38
	v_add_f32_e32 v21, v35, v41
	v_fmac_f32_e32 v20, 0xbf5db3d7, v19
	v_fmac_f32_e32 v38, 0x3f5db3d7, v19
	v_add_f32_e32 v19, v39, v35
	v_fmac_f32_e32 v39, -0.5, v21
	v_add_f32_e32 v5, v5, v22
	v_sub_f32_e32 v22, v34, v40
	v_mov_b32_e32 v21, v39
	v_add_f32_e32 v12, v12, v33
	v_add_f32_e32 v18, v18, v40
	;; [unrolled: 1-line block ×3, first 2 shown]
	v_fmac_f32_e32 v21, 0x3f5db3d7, v22
	v_fmac_f32_e32 v39, 0xbf5db3d7, v22
	s_waitcnt lgkmcnt(0)
	; wave barrier
	ds_write2_b64 v89, v[4:5], v[6:7] offset1:17
	ds_write_b64 v89, v[0:1] offset:272
	ds_write2_b64 v90, v[8:9], v[10:11] offset1:17
	ds_write_b64 v90, v[2:3] offset:272
	;; [unrolled: 2-line block ×4, first 2 shown]
	s_waitcnt lgkmcnt(0)
	; wave barrier
	s_waitcnt lgkmcnt(0)
	ds_read2_b64 v[0:3], v87 offset1:51
	ds_read2_b64 v[4:7], v87 offset0:102 offset1:153
	ds_read2_b64 v[8:11], v87 offset0:204 offset1:255
	;; [unrolled: 1-line block ×5, first 2 shown]
	s_waitcnt lgkmcnt(4)
	v_mul_f32_e32 v32, v29, v5
	v_fmac_f32_e32 v32, v28, v4
	v_mul_f32_e32 v4, v29, v4
	v_fma_f32 v33, v28, v5, -v4
	s_waitcnt lgkmcnt(3)
	v_mul_f32_e32 v4, v31, v9
	v_fmac_f32_e32 v4, v30, v8
	v_mul_f32_e32 v5, v31, v8
	s_waitcnt lgkmcnt(2)
	v_mul_f32_e32 v8, v25, v13
	v_fma_f32 v5, v30, v9, -v5
	v_fmac_f32_e32 v8, v24, v12
	v_mul_f32_e32 v9, v25, v12
	s_waitcnt lgkmcnt(1)
	v_mul_f32_e32 v12, v27, v17
	v_fma_f32 v9, v24, v13, -v9
	;; [unrolled: 5-line block ×3, first 2 shown]
	v_fmac_f32_e32 v16, v59, v20
	v_mul_f32_e32 v17, v60, v20
	v_mul_f32_e32 v20, v29, v7
	v_fmac_f32_e32 v20, v28, v6
	v_mul_f32_e32 v6, v29, v6
	v_fma_f32 v17, v59, v21, -v17
	v_fma_f32 v21, v28, v7, -v6
	v_mul_f32_e32 v28, v31, v11
	v_mul_f32_e32 v6, v31, v10
	v_fmac_f32_e32 v28, v30, v10
	v_fma_f32 v29, v30, v11, -v6
	v_mul_f32_e32 v30, v25, v15
	v_mul_f32_e32 v6, v25, v14
	v_fmac_f32_e32 v30, v24, v14
	;; [unrolled: 4-line block ×4, first 2 shown]
	v_fma_f32 v22, v59, v23, -v6
	v_add_f32_e32 v6, v0, v4
	v_add_f32_e32 v10, v6, v12
	;; [unrolled: 1-line block ×3, first 2 shown]
	v_fma_f32 v11, -0.5, v6, v0
	v_sub_f32_e32 v0, v5, v13
	v_mov_b32_e32 v23, v11
	v_fmac_f32_e32 v23, 0xbf5db3d7, v0
	v_fmac_f32_e32 v11, 0x3f5db3d7, v0
	v_add_f32_e32 v0, v1, v5
	v_add_f32_e32 v24, v0, v13
	;; [unrolled: 1-line block ×3, first 2 shown]
	v_fma_f32 v13, -0.5, v0, v1
	v_sub_f32_e32 v0, v4, v12
	v_mov_b32_e32 v25, v13
	v_fmac_f32_e32 v25, 0x3f5db3d7, v0
	v_fmac_f32_e32 v13, 0xbf5db3d7, v0
	v_add_f32_e32 v0, v32, v8
	v_add_f32_e32 v12, v0, v16
	;; [unrolled: 1-line block ×3, first 2 shown]
	v_fmac_f32_e32 v32, -0.5, v0
	v_sub_f32_e32 v0, v9, v17
	v_mov_b32_e32 v5, v32
	v_fmac_f32_e32 v5, 0xbf5db3d7, v0
	v_fmac_f32_e32 v32, 0x3f5db3d7, v0
	v_add_f32_e32 v0, v33, v9
	v_add_f32_e32 v26, v0, v17
	;; [unrolled: 1-line block ×3, first 2 shown]
	v_fmac_f32_e32 v33, -0.5, v0
	v_sub_f32_e32 v0, v8, v16
	v_mov_b32_e32 v7, v33
	v_fmac_f32_e32 v33, 0xbf5db3d7, v0
	v_fmac_f32_e32 v7, 0x3f5db3d7, v0
	v_mul_f32_e32 v16, 0xbf5db3d7, v33
	v_mul_f32_e32 v9, 0xbf5db3d7, v7
	v_fmac_f32_e32 v16, -0.5, v32
	v_add_f32_e32 v0, v10, v12
	v_fmac_f32_e32 v9, 0.5, v5
	v_add_f32_e32 v6, v11, v16
	v_sub_f32_e32 v8, v10, v12
	v_sub_f32_e32 v12, v11, v16
	v_add_f32_e32 v16, v2, v28
	v_add_f32_e32 v4, v23, v9
	v_sub_f32_e32 v10, v23, v9
	v_add_f32_e32 v23, v16, v15
	v_add_f32_e32 v16, v28, v15
	v_fma_f32 v2, -0.5, v16, v2
	v_add_f32_e32 v1, v24, v26
	v_mul_f32_e32 v17, 0.5, v7
	v_sub_f32_e32 v9, v24, v26
	v_sub_f32_e32 v16, v29, v18
	v_mov_b32_e32 v24, v2
	v_fmac_f32_e32 v17, 0x3f5db3d7, v5
	v_fmac_f32_e32 v24, 0xbf5db3d7, v16
	;; [unrolled: 1-line block ×3, first 2 shown]
	v_add_f32_e32 v16, v3, v29
	v_add_f32_e32 v5, v25, v17
	v_sub_f32_e32 v11, v25, v17
	v_add_f32_e32 v25, v16, v18
	v_add_f32_e32 v16, v29, v18
	v_fmac_f32_e32 v3, -0.5, v16
	v_mul_f32_e32 v27, -0.5, v33
	v_sub_f32_e32 v15, v28, v15
	v_mov_b32_e32 v26, v3
	v_fmac_f32_e32 v27, 0x3f5db3d7, v32
	v_fmac_f32_e32 v26, 0x3f5db3d7, v15
	;; [unrolled: 1-line block ×3, first 2 shown]
	v_add_f32_e32 v15, v20, v30
	v_add_f32_e32 v7, v13, v27
	v_sub_f32_e32 v13, v13, v27
	v_add_f32_e32 v27, v15, v19
	v_add_f32_e32 v15, v30, v19
	v_fmac_f32_e32 v20, -0.5, v15
	v_sub_f32_e32 v15, v14, v22
	v_mov_b32_e32 v17, v20
	v_fmac_f32_e32 v17, 0xbf5db3d7, v15
	v_fmac_f32_e32 v20, 0x3f5db3d7, v15
	v_add_f32_e32 v15, v21, v14
	v_add_f32_e32 v14, v14, v22
	v_fmac_f32_e32 v21, -0.5, v14
	v_sub_f32_e32 v14, v30, v19
	v_mov_b32_e32 v19, v21
	v_fmac_f32_e32 v19, 0x3f5db3d7, v14
	v_fmac_f32_e32 v21, 0xbf5db3d7, v14
	v_add_f32_e32 v28, v15, v22
	v_mul_f32_e32 v22, 0xbf5db3d7, v19
	v_mul_f32_e32 v29, 0xbf5db3d7, v21
	v_mul_f32_e32 v30, 0.5, v19
	v_mul_f32_e32 v31, -0.5, v21
	v_fmac_f32_e32 v22, 0.5, v17
	v_fmac_f32_e32 v29, -0.5, v20
	v_fmac_f32_e32 v30, 0x3f5db3d7, v17
	v_fmac_f32_e32 v31, 0x3f5db3d7, v20
	v_add_f32_e32 v14, v23, v27
	v_add_f32_e32 v16, v24, v22
	v_add_f32_e32 v18, v2, v29
	v_add_f32_e32 v15, v25, v28
	v_add_f32_e32 v17, v26, v30
	v_add_f32_e32 v19, v3, v31
	v_sub_f32_e32 v20, v23, v27
	v_sub_f32_e32 v22, v24, v22
	;; [unrolled: 1-line block ×6, first 2 shown]
	s_waitcnt lgkmcnt(0)
	; wave barrier
	ds_write2_b64 v87, v[0:1], v[4:5] offset1:51
	ds_write2_b64 v87, v[6:7], v[8:9] offset0:102 offset1:153
	ds_write2_b64 v87, v[10:11], v[12:13] offset0:204 offset1:255
	;; [unrolled: 1-line block ×5, first 2 shown]
	s_waitcnt lgkmcnt(0)
	; wave barrier
	s_waitcnt lgkmcnt(0)
	ds_read2_b64 v[0:3], v87 offset1:51
	ds_read2_b64 v[4:7], v48 offset0:50 offset1:101
	ds_read2_b64 v[8:11], v87 offset0:102 offset1:153
	;; [unrolled: 1-line block ×5, first 2 shown]
	s_waitcnt lgkmcnt(4)
	v_mul_f32_e32 v24, v62, v5
	v_fmac_f32_e32 v24, v61, v4
	v_mul_f32_e32 v4, v62, v4
	v_fma_f32 v5, v61, v5, -v4
	v_mul_f32_e32 v4, v64, v6
	v_mul_f32_e32 v25, v64, v7
	v_fma_f32 v7, v63, v7, -v4
	s_waitcnt lgkmcnt(2)
	v_mul_f32_e32 v4, v66, v12
	v_mul_f32_e32 v26, v66, v13
	v_fma_f32 v13, v65, v13, -v4
	v_mul_f32_e32 v4, v68, v14
	v_mul_f32_e32 v27, v68, v15
	v_fma_f32 v15, v67, v15, -v4
	s_waitcnt lgkmcnt(0)
	v_mul_f32_e32 v4, v70, v20
	v_fmac_f32_e32 v25, v63, v6
	v_mul_f32_e32 v28, v70, v21
	v_fma_f32 v21, v69, v21, -v4
	v_mul_f32_e32 v29, v72, v23
	v_mul_f32_e32 v4, v72, v22
	v_fmac_f32_e32 v26, v65, v12
	v_fmac_f32_e32 v27, v67, v14
	;; [unrolled: 1-line block ×4, first 2 shown]
	v_fma_f32 v23, v71, v23, -v4
	v_sub_f32_e32 v4, v0, v24
	v_sub_f32_e32 v5, v1, v5
	;; [unrolled: 1-line block ×4, first 2 shown]
	v_fma_f32 v0, v0, 2.0, -v4
	v_fma_f32 v1, v1, 2.0, -v5
	v_fma_f32 v2, v2, 2.0, -v6
	v_fma_f32 v3, v3, 2.0, -v7
	v_sub_f32_e32 v12, v8, v26
	v_sub_f32_e32 v13, v9, v13
	;; [unrolled: 1-line block ×8, first 2 shown]
	v_fma_f32 v8, v8, 2.0, -v12
	v_fma_f32 v9, v9, 2.0, -v13
	;; [unrolled: 1-line block ×8, first 2 shown]
	ds_write2_b64 v87, v[0:1], v[2:3] offset1:51
	ds_write2_b64 v48, v[4:5], v[6:7] offset0:50 offset1:101
	ds_write2_b64 v87, v[8:9], v[10:11] offset0:102 offset1:153
	;; [unrolled: 1-line block ×5, first 2 shown]
	s_waitcnt lgkmcnt(0)
	; wave barrier
	s_waitcnt lgkmcnt(0)
	s_and_b64 exec, exec, vcc
	s_cbranch_execz .LBB0_15
; %bb.14:
	global_load_dwordx2 v[0:1], v86, s[12:13]
	ds_read_b64 v[4:5], v87
	v_mad_u64_u32 v[2:3], s[0:1], s6, v227, 0
	v_mad_u64_u32 v[6:7], s[0:1], s4, v85, 0
	s_waitcnt lgkmcnt(0)
	v_mad_u64_u32 v[8:9], s[2:3], s7, v227, v[3:4]
	s_mov_b32 s0, 0x1ac5701b
	s_mov_b32 s1, 0x3f5ac570
	v_mad_u64_u32 v[9:10], s[2:3], s5, v85, v[7:8]
	v_mov_b32_e32 v11, s15
	s_mul_i32 s3, s5, 0x120
	v_mov_b32_e32 v7, v9
	v_lshlrev_b64 v[6:7], 3, v[6:7]
	s_mul_hi_u32 s6, s4, 0x120
	s_mul_i32 s2, s4, 0x120
	s_add_i32 s3, s6, s3
	s_movk_i32 s6, 0x1000
	v_mov_b32_e32 v12, s3
	s_waitcnt vmcnt(0)
	v_mul_f32_e32 v3, v5, v1
	v_mul_f32_e32 v1, v4, v1
	v_fmac_f32_e32 v3, v4, v0
	v_fma_f32 v4, v0, v5, -v1
	v_cvt_f64_f32_e32 v[0:1], v3
	v_cvt_f64_f32_e32 v[4:5], v4
	v_mov_b32_e32 v3, v8
	v_lshlrev_b64 v[2:3], 3, v[2:3]
	v_mul_f64 v[0:1], v[0:1], s[0:1]
	v_mul_f64 v[4:5], v[4:5], s[0:1]
	v_add_co_u32_e32 v8, vcc, s14, v2
	v_addc_co_u32_e32 v9, vcc, v11, v3, vcc
	v_cvt_f32_f64_e32 v0, v[0:1]
	v_cvt_f32_f64_e32 v1, v[4:5]
	v_add_co_u32_e32 v4, vcc, v8, v6
	v_addc_co_u32_e32 v5, vcc, v9, v7, vcc
	global_store_dwordx2 v[4:5], v[0:1], off
	global_load_dwordx2 v[6:7], v86, s[12:13] offset:288
	ds_read2_b64 v[0:3], v88 offset0:36 offset1:72
	v_add_co_u32_e32 v4, vcc, s2, v4
	s_waitcnt vmcnt(0) lgkmcnt(0)
	v_mul_f32_e32 v10, v1, v7
	v_mul_f32_e32 v7, v0, v7
	v_fmac_f32_e32 v10, v0, v6
	v_fma_f32 v6, v6, v1, -v7
	v_cvt_f64_f32_e32 v[0:1], v10
	v_cvt_f64_f32_e32 v[6:7], v6
	v_mov_b32_e32 v10, s3
	v_addc_co_u32_e32 v5, vcc, v5, v10, vcc
	v_mul_f64 v[0:1], v[0:1], s[0:1]
	v_mul_f64 v[6:7], v[6:7], s[0:1]
	v_cvt_f32_f64_e32 v0, v[0:1]
	v_cvt_f32_f64_e32 v1, v[6:7]
	global_store_dwordx2 v[4:5], v[0:1], off
	global_load_dwordx2 v[0:1], v86, s[12:13] offset:576
	v_add_co_u32_e32 v4, vcc, s2, v4
	s_waitcnt vmcnt(0)
	v_mul_f32_e32 v6, v3, v1
	v_mul_f32_e32 v1, v2, v1
	v_fmac_f32_e32 v6, v2, v0
	v_fma_f32 v2, v0, v3, -v1
	v_cvt_f64_f32_e32 v[0:1], v6
	v_cvt_f64_f32_e32 v[2:3], v2
	v_mov_b32_e32 v6, s3
	v_addc_co_u32_e32 v5, vcc, v5, v6, vcc
	v_mul_f64 v[0:1], v[0:1], s[0:1]
	v_mul_f64 v[2:3], v[2:3], s[0:1]
	v_cvt_f32_f64_e32 v0, v[0:1]
	v_cvt_f32_f64_e32 v1, v[2:3]
	global_store_dwordx2 v[4:5], v[0:1], off
	global_load_dwordx2 v[6:7], v86, s[12:13] offset:864
	ds_read2_b64 v[0:3], v88 offset0:108 offset1:144
	v_add_co_u32_e32 v4, vcc, s2, v4
	s_waitcnt vmcnt(0) lgkmcnt(0)
	v_mul_f32_e32 v10, v1, v7
	v_mul_f32_e32 v7, v0, v7
	v_fmac_f32_e32 v10, v0, v6
	v_fma_f32 v6, v6, v1, -v7
	v_cvt_f64_f32_e32 v[0:1], v10
	v_cvt_f64_f32_e32 v[6:7], v6
	v_mov_b32_e32 v10, s3
	v_addc_co_u32_e32 v5, vcc, v5, v10, vcc
	v_mul_f64 v[0:1], v[0:1], s[0:1]
	v_mul_f64 v[6:7], v[6:7], s[0:1]
	v_cvt_f32_f64_e32 v0, v[0:1]
	v_cvt_f32_f64_e32 v1, v[6:7]
	global_store_dwordx2 v[4:5], v[0:1], off
	global_load_dwordx2 v[0:1], v86, s[12:13] offset:1152
	v_add_co_u32_e32 v4, vcc, s2, v4
	s_waitcnt vmcnt(0)
	v_mul_f32_e32 v6, v3, v1
	v_mul_f32_e32 v1, v2, v1
	v_fmac_f32_e32 v6, v2, v0
	v_fma_f32 v2, v0, v3, -v1
	v_cvt_f64_f32_e32 v[0:1], v6
	v_cvt_f64_f32_e32 v[2:3], v2
	v_mov_b32_e32 v6, s3
	v_addc_co_u32_e32 v5, vcc, v5, v6, vcc
	v_mul_f64 v[0:1], v[0:1], s[0:1]
	v_mul_f64 v[2:3], v[2:3], s[0:1]
	v_cvt_f32_f64_e32 v0, v[0:1]
	v_cvt_f32_f64_e32 v1, v[2:3]
	global_store_dwordx2 v[4:5], v[0:1], off
	global_load_dwordx2 v[6:7], v86, s[12:13] offset:1440
	ds_read2_b64 v[0:3], v88 offset0:180 offset1:216
	v_add_co_u32_e32 v4, vcc, s2, v4
	s_waitcnt vmcnt(0) lgkmcnt(0)
	v_mul_f32_e32 v10, v1, v7
	v_mul_f32_e32 v7, v0, v7
	v_fmac_f32_e32 v10, v0, v6
	v_fma_f32 v6, v6, v1, -v7
	v_cvt_f64_f32_e32 v[0:1], v10
	v_cvt_f64_f32_e32 v[6:7], v6
	v_mov_b32_e32 v10, s3
	v_addc_co_u32_e32 v5, vcc, v5, v10, vcc
	v_mul_f64 v[0:1], v[0:1], s[0:1]
	v_mul_f64 v[6:7], v[6:7], s[0:1]
	v_cvt_f32_f64_e32 v0, v[0:1]
	v_cvt_f32_f64_e32 v1, v[6:7]
	global_store_dwordx2 v[4:5], v[0:1], off
	global_load_dwordx2 v[0:1], v86, s[12:13] offset:1728
	v_add_co_u32_e32 v4, vcc, s2, v4
	s_waitcnt vmcnt(0)
	v_mul_f32_e32 v6, v3, v1
	v_mul_f32_e32 v1, v2, v1
	v_fmac_f32_e32 v6, v2, v0
	v_fma_f32 v2, v0, v3, -v1
	v_cvt_f64_f32_e32 v[0:1], v6
	v_cvt_f64_f32_e32 v[2:3], v2
	v_mov_b32_e32 v6, s3
	v_addc_co_u32_e32 v5, vcc, v5, v6, vcc
	v_mul_f64 v[0:1], v[0:1], s[0:1]
	v_mul_f64 v[2:3], v[2:3], s[0:1]
	v_cvt_f32_f64_e32 v0, v[0:1]
	v_cvt_f32_f64_e32 v1, v[2:3]
	global_store_dwordx2 v[4:5], v[0:1], off
	global_load_dwordx2 v[6:7], v86, s[12:13] offset:2016
	v_add_u32_e32 v0, 0x400, v88
	ds_read2_b64 v[0:3], v0 offset0:124 offset1:160
	v_add_co_u32_e32 v4, vcc, s2, v4
	s_waitcnt vmcnt(0) lgkmcnt(0)
	v_mul_f32_e32 v10, v1, v7
	v_mul_f32_e32 v7, v0, v7
	v_fmac_f32_e32 v10, v0, v6
	v_fma_f32 v6, v6, v1, -v7
	v_cvt_f64_f32_e32 v[0:1], v10
	v_cvt_f64_f32_e32 v[6:7], v6
	v_mov_b32_e32 v10, s3
	v_addc_co_u32_e32 v5, vcc, v5, v10, vcc
	v_mul_f64 v[0:1], v[0:1], s[0:1]
	v_mul_f64 v[6:7], v[6:7], s[0:1]
	v_add_u32_e32 v10, 0x800, v88
	v_cvt_f32_f64_e32 v0, v[0:1]
	v_cvt_f32_f64_e32 v1, v[6:7]
	global_store_dwordx2 v[4:5], v[0:1], off
	global_load_dwordx2 v[0:1], v86, s[12:13] offset:2304
	v_add_co_u32_e32 v4, vcc, s2, v4
	s_waitcnt vmcnt(0)
	v_mul_f32_e32 v6, v3, v1
	v_mul_f32_e32 v1, v2, v1
	v_fmac_f32_e32 v6, v2, v0
	v_fma_f32 v2, v0, v3, -v1
	v_cvt_f64_f32_e32 v[0:1], v6
	v_cvt_f64_f32_e32 v[2:3], v2
	v_mov_b32_e32 v6, s3
	v_addc_co_u32_e32 v5, vcc, v5, v6, vcc
	v_mul_f64 v[0:1], v[0:1], s[0:1]
	v_mul_f64 v[2:3], v[2:3], s[0:1]
	v_cvt_f32_f64_e32 v0, v[0:1]
	v_cvt_f32_f64_e32 v1, v[2:3]
	global_store_dwordx2 v[4:5], v[0:1], off
	global_load_dwordx2 v[6:7], v86, s[12:13] offset:2592
	ds_read2_b64 v[0:3], v10 offset0:68 offset1:104
	v_add_co_u32_e32 v4, vcc, s2, v4
	s_waitcnt vmcnt(0) lgkmcnt(0)
	v_mul_f32_e32 v11, v1, v7
	v_mul_f32_e32 v7, v0, v7
	v_fmac_f32_e32 v11, v0, v6
	v_fma_f32 v6, v6, v1, -v7
	v_cvt_f64_f32_e32 v[0:1], v11
	v_cvt_f64_f32_e32 v[6:7], v6
	v_mov_b32_e32 v11, s3
	v_addc_co_u32_e32 v5, vcc, v5, v11, vcc
	v_mul_f64 v[0:1], v[0:1], s[0:1]
	v_mul_f64 v[6:7], v[6:7], s[0:1]
	v_cvt_f32_f64_e32 v0, v[0:1]
	v_cvt_f32_f64_e32 v1, v[6:7]
	global_store_dwordx2 v[4:5], v[0:1], off
	global_load_dwordx2 v[0:1], v86, s[12:13] offset:2880
	v_add_co_u32_e32 v4, vcc, s2, v4
	s_waitcnt vmcnt(0)
	v_mul_f32_e32 v6, v3, v1
	v_mul_f32_e32 v1, v2, v1
	v_fmac_f32_e32 v6, v2, v0
	v_fma_f32 v2, v0, v3, -v1
	v_cvt_f64_f32_e32 v[0:1], v6
	v_cvt_f64_f32_e32 v[2:3], v2
	v_mov_b32_e32 v6, s3
	v_addc_co_u32_e32 v5, vcc, v5, v6, vcc
	v_mul_f64 v[0:1], v[0:1], s[0:1]
	v_mul_f64 v[2:3], v[2:3], s[0:1]
	v_cvt_f32_f64_e32 v0, v[0:1]
	v_cvt_f32_f64_e32 v1, v[2:3]
	global_store_dwordx2 v[4:5], v[0:1], off
	global_load_dwordx2 v[6:7], v86, s[12:13] offset:3168
	ds_read2_b64 v[0:3], v10 offset0:140 offset1:176
	v_add_co_u32_e32 v4, vcc, s2, v4
	s_waitcnt vmcnt(0) lgkmcnt(0)
	v_mul_f32_e32 v11, v1, v7
	v_mul_f32_e32 v7, v0, v7
	v_fmac_f32_e32 v11, v0, v6
	v_fma_f32 v6, v6, v1, -v7
	v_cvt_f64_f32_e32 v[0:1], v11
	v_cvt_f64_f32_e32 v[6:7], v6
	v_mov_b32_e32 v11, s3
	v_addc_co_u32_e32 v5, vcc, v5, v11, vcc
	v_mul_f64 v[0:1], v[0:1], s[0:1]
	v_mul_f64 v[6:7], v[6:7], s[0:1]
	;; [unrolled: 33-line block ×3, first 2 shown]
	v_cvt_f32_f64_e32 v0, v[0:1]
	v_cvt_f32_f64_e32 v1, v[6:7]
	v_add_co_u32_e32 v7, vcc, s12, v86
	global_store_dwordx2 v[4:5], v[0:1], off
	global_load_dwordx2 v[0:1], v86, s[12:13] offset:4032
	s_waitcnt vmcnt(0)
	v_mul_f32_e32 v6, v3, v1
	v_mul_f32_e32 v1, v2, v1
	v_fmac_f32_e32 v6, v2, v0
	v_fma_f32 v2, v0, v3, -v1
	v_cvt_f64_f32_e32 v[0:1], v6
	v_cvt_f64_f32_e32 v[2:3], v2
	v_mov_b32_e32 v6, s13
	v_addc_co_u32_e32 v10, vcc, 0, v6, vcc
	v_mul_f64 v[0:1], v[0:1], s[0:1]
	v_mul_f64 v[2:3], v[2:3], s[0:1]
	v_add_co_u32_e32 v6, vcc, s6, v7
	v_addc_co_u32_e32 v7, vcc, 0, v10, vcc
	v_add_co_u32_e32 v4, vcc, s2, v4
	v_cvt_f32_f64_e32 v0, v[0:1]
	v_cvt_f32_f64_e32 v1, v[2:3]
	v_addc_co_u32_e32 v5, vcc, v5, v11, vcc
	global_store_dwordx2 v[4:5], v[0:1], off
	global_load_dwordx2 v[6:7], v[6:7], off offset:224
	v_add_u32_e32 v0, 0x1000, v88
	ds_read2_b64 v[0:3], v0 offset0:28 offset1:64
	v_add_co_u32_e32 v4, vcc, s2, v4
	v_addc_co_u32_e32 v5, vcc, v5, v12, vcc
	s_waitcnt vmcnt(0) lgkmcnt(0)
	v_mul_f32_e32 v10, v1, v7
	v_mul_f32_e32 v7, v0, v7
	v_fmac_f32_e32 v10, v0, v6
	v_fma_f32 v6, v6, v1, -v7
	v_cvt_f64_f32_e32 v[0:1], v10
	v_cvt_f64_f32_e32 v[6:7], v6
	v_or_b32_e32 v10, 0x240, v85
	v_lshlrev_b32_e32 v11, 3, v10
	v_mul_f64 v[0:1], v[0:1], s[0:1]
	v_mul_f64 v[6:7], v[6:7], s[0:1]
	v_cvt_f32_f64_e32 v0, v[0:1]
	v_cvt_f32_f64_e32 v1, v[6:7]
	global_store_dwordx2 v[4:5], v[0:1], off
	global_load_dwordx2 v[0:1], v11, s[12:13]
	v_mad_u64_u32 v[4:5], s[2:3], s4, v10, 0
	s_waitcnt vmcnt(0)
	v_mul_f32_e32 v6, v3, v1
	v_mul_f32_e32 v1, v2, v1
	v_fmac_f32_e32 v6, v2, v0
	v_fma_f32 v2, v0, v3, -v1
	v_cvt_f64_f32_e32 v[0:1], v6
	v_cvt_f64_f32_e32 v[2:3], v2
	v_mul_f64 v[0:1], v[0:1], s[0:1]
	v_mul_f64 v[2:3], v[2:3], s[0:1]
	v_mad_u64_u32 v[5:6], s[0:1], s5, v10, v[5:6]
	v_lshlrev_b64 v[4:5], 3, v[4:5]
	v_cvt_f32_f64_e32 v0, v[0:1]
	v_cvt_f32_f64_e32 v1, v[2:3]
	v_add_co_u32_e32 v2, vcc, v8, v4
	v_addc_co_u32_e32 v3, vcc, v9, v5, vcc
	global_store_dwordx2 v[2:3], v[0:1], off
.LBB0_15:
	s_endpgm
	.section	.rodata,"a",@progbits
	.p2align	6, 0x0
	.amdhsa_kernel bluestein_single_back_len612_dim1_sp_op_CI_CI
		.amdhsa_group_segment_fixed_size 4896
		.amdhsa_private_segment_fixed_size 0
		.amdhsa_kernarg_size 104
		.amdhsa_user_sgpr_count 6
		.amdhsa_user_sgpr_private_segment_buffer 1
		.amdhsa_user_sgpr_dispatch_ptr 0
		.amdhsa_user_sgpr_queue_ptr 0
		.amdhsa_user_sgpr_kernarg_segment_ptr 1
		.amdhsa_user_sgpr_dispatch_id 0
		.amdhsa_user_sgpr_flat_scratch_init 0
		.amdhsa_user_sgpr_private_segment_size 0
		.amdhsa_uses_dynamic_stack 0
		.amdhsa_system_sgpr_private_segment_wavefront_offset 0
		.amdhsa_system_sgpr_workgroup_id_x 1
		.amdhsa_system_sgpr_workgroup_id_y 0
		.amdhsa_system_sgpr_workgroup_id_z 0
		.amdhsa_system_sgpr_workgroup_info 0
		.amdhsa_system_vgpr_workitem_id 0
		.amdhsa_next_free_vgpr 256
		.amdhsa_next_free_sgpr 18
		.amdhsa_reserve_vcc 1
		.amdhsa_reserve_flat_scratch 0
		.amdhsa_float_round_mode_32 0
		.amdhsa_float_round_mode_16_64 0
		.amdhsa_float_denorm_mode_32 3
		.amdhsa_float_denorm_mode_16_64 3
		.amdhsa_dx10_clamp 1
		.amdhsa_ieee_mode 1
		.amdhsa_fp16_overflow 0
		.amdhsa_exception_fp_ieee_invalid_op 0
		.amdhsa_exception_fp_denorm_src 0
		.amdhsa_exception_fp_ieee_div_zero 0
		.amdhsa_exception_fp_ieee_overflow 0
		.amdhsa_exception_fp_ieee_underflow 0
		.amdhsa_exception_fp_ieee_inexact 0
		.amdhsa_exception_int_div_zero 0
	.end_amdhsa_kernel
	.text
.Lfunc_end0:
	.size	bluestein_single_back_len612_dim1_sp_op_CI_CI, .Lfunc_end0-bluestein_single_back_len612_dim1_sp_op_CI_CI
                                        ; -- End function
	.section	.AMDGPU.csdata,"",@progbits
; Kernel info:
; codeLenInByte = 18408
; NumSgprs: 22
; NumVgprs: 256
; ScratchSize: 0
; MemoryBound: 0
; FloatMode: 240
; IeeeMode: 1
; LDSByteSize: 4896 bytes/workgroup (compile time only)
; SGPRBlocks: 2
; VGPRBlocks: 63
; NumSGPRsForWavesPerEU: 22
; NumVGPRsForWavesPerEU: 256
; Occupancy: 1
; WaveLimiterHint : 1
; COMPUTE_PGM_RSRC2:SCRATCH_EN: 0
; COMPUTE_PGM_RSRC2:USER_SGPR: 6
; COMPUTE_PGM_RSRC2:TRAP_HANDLER: 0
; COMPUTE_PGM_RSRC2:TGID_X_EN: 1
; COMPUTE_PGM_RSRC2:TGID_Y_EN: 0
; COMPUTE_PGM_RSRC2:TGID_Z_EN: 0
; COMPUTE_PGM_RSRC2:TIDIG_COMP_CNT: 0
	.type	__hip_cuid_2766b5dcb5459c18,@object ; @__hip_cuid_2766b5dcb5459c18
	.section	.bss,"aw",@nobits
	.globl	__hip_cuid_2766b5dcb5459c18
__hip_cuid_2766b5dcb5459c18:
	.byte	0                               ; 0x0
	.size	__hip_cuid_2766b5dcb5459c18, 1

	.ident	"AMD clang version 19.0.0git (https://github.com/RadeonOpenCompute/llvm-project roc-6.4.0 25133 c7fe45cf4b819c5991fe208aaa96edf142730f1d)"
	.section	".note.GNU-stack","",@progbits
	.addrsig
	.addrsig_sym __hip_cuid_2766b5dcb5459c18
	.amdgpu_metadata
---
amdhsa.kernels:
  - .args:
      - .actual_access:  read_only
        .address_space:  global
        .offset:         0
        .size:           8
        .value_kind:     global_buffer
      - .actual_access:  read_only
        .address_space:  global
        .offset:         8
        .size:           8
        .value_kind:     global_buffer
      - .actual_access:  read_only
        .address_space:  global
        .offset:         16
        .size:           8
        .value_kind:     global_buffer
      - .actual_access:  read_only
        .address_space:  global
        .offset:         24
        .size:           8
        .value_kind:     global_buffer
      - .actual_access:  read_only
        .address_space:  global
        .offset:         32
        .size:           8
        .value_kind:     global_buffer
      - .offset:         40
        .size:           8
        .value_kind:     by_value
      - .address_space:  global
        .offset:         48
        .size:           8
        .value_kind:     global_buffer
      - .address_space:  global
        .offset:         56
        .size:           8
        .value_kind:     global_buffer
      - .address_space:  global
        .offset:         64
        .size:           8
        .value_kind:     global_buffer
      - .address_space:  global
        .offset:         72
        .size:           8
        .value_kind:     global_buffer
      - .offset:         80
        .size:           4
        .value_kind:     by_value
      - .address_space:  global
        .offset:         88
        .size:           8
        .value_kind:     global_buffer
      - .address_space:  global
        .offset:         96
        .size:           8
        .value_kind:     global_buffer
    .group_segment_fixed_size: 4896
    .kernarg_segment_align: 8
    .kernarg_segment_size: 104
    .language:       OpenCL C
    .language_version:
      - 2
      - 0
    .max_flat_workgroup_size: 51
    .name:           bluestein_single_back_len612_dim1_sp_op_CI_CI
    .private_segment_fixed_size: 0
    .sgpr_count:     22
    .sgpr_spill_count: 0
    .symbol:         bluestein_single_back_len612_dim1_sp_op_CI_CI.kd
    .uniform_work_group_size: 1
    .uses_dynamic_stack: false
    .vgpr_count:     256
    .vgpr_spill_count: 0
    .wavefront_size: 64
amdhsa.target:   amdgcn-amd-amdhsa--gfx906
amdhsa.version:
  - 1
  - 2
...

	.end_amdgpu_metadata
